;; amdgpu-corpus repo=ROCm/rocFFT kind=compiled arch=gfx906 opt=O3
	.text
	.amdgcn_target "amdgcn-amd-amdhsa--gfx906"
	.amdhsa_code_object_version 6
	.protected	bluestein_single_back_len2160_dim1_half_op_CI_CI ; -- Begin function bluestein_single_back_len2160_dim1_half_op_CI_CI
	.globl	bluestein_single_back_len2160_dim1_half_op_CI_CI
	.p2align	8
	.type	bluestein_single_back_len2160_dim1_half_op_CI_CI,@function
bluestein_single_back_len2160_dim1_half_op_CI_CI: ; @bluestein_single_back_len2160_dim1_half_op_CI_CI
; %bb.0:
	s_load_dwordx4 s[12:15], s[4:5], 0x28
	v_mul_u32_u24_e32 v1, 0x445, v0
	v_add_u32_sdwa v70, s6, v1 dst_sel:DWORD dst_unused:UNUSED_PAD src0_sel:DWORD src1_sel:WORD_1
	v_mov_b32_e32 v71, 0
	s_waitcnt lgkmcnt(0)
	v_cmp_gt_u64_e32 vcc, s[12:13], v[70:71]
	s_and_saveexec_b64 s[0:1], vcc
	s_cbranch_execz .LBB0_15
; %bb.1:
	s_load_dwordx4 s[8:11], s[4:5], 0x18
	v_mov_b32_e32 v2, 60
	v_mul_lo_u16_sdwa v1, v1, v2 dst_sel:DWORD dst_unused:UNUSED_PAD src0_sel:WORD_1 src1_sel:DWORD
	v_sub_u16_e32 v142, v0, v1
	v_lshlrev_b32_e32 v111, 2, v142
	s_waitcnt lgkmcnt(0)
	s_load_dwordx4 s[0:3], s[8:9], 0x0
	v_or_b32_e32 v134, 0x6c0, v142
	v_lshlrev_b32_e32 v85, 2, v134
	v_or_b32_e32 v121, 0x300, v142
	s_waitcnt lgkmcnt(0)
	v_mad_u64_u32 v[5:6], s[6:7], s0, v142, 0
	v_mad_u64_u32 v[0:1], s[6:7], s2, v70, 0
	v_mov_b32_e32 v2, v6
	s_mul_i32 s6, s1, 0xd8
	v_mad_u64_u32 v[3:4], s[2:3], s3, v70, v[1:2]
	v_mov_b32_e32 v4, s15
	s_mul_hi_u32 s7, s0, 0xd8
	v_mad_u64_u32 v[6:7], s[2:3], s1, v142, v[2:3]
	v_mov_b32_e32 v1, v3
	v_lshlrev_b64 v[0:1], 2, v[0:1]
	s_load_dwordx2 s[2:3], s[4:5], 0x0
	v_add_co_u32_e32 v2, vcc, s14, v0
	v_addc_co_u32_e32 v4, vcc, v4, v1, vcc
	v_lshlrev_b64 v[0:1], 2, v[5:6]
	s_add_i32 s7, s7, s6
	v_add_co_u32_e32 v0, vcc, v2, v0
	s_mul_i32 s6, s0, 0xd8
	v_addc_co_u32_e32 v1, vcc, v4, v1, vcc
	s_lshl_b64 s[12:13], s[6:7], 2
	s_load_dwordx2 s[6:7], s[4:5], 0x38
	global_load_dword v7, v[0:1], off
	v_mov_b32_e32 v3, s13
	v_add_co_u32_e32 v0, vcc, s12, v0
	s_waitcnt lgkmcnt(0)
	global_load_dword v144, v111, s[2:3]
	v_addc_co_u32_e32 v1, vcc, v1, v3, vcc
	global_load_dword v8, v[0:1], off
	global_load_dword v143, v111, s[2:3] offset:864
	v_add_co_u32_e32 v0, vcc, s12, v0
	v_addc_co_u32_e32 v1, vcc, v1, v3, vcc
	global_load_dword v9, v[0:1], off
	global_load_dword v140, v111, s[2:3] offset:1728
	v_add_co_u32_e32 v0, vcc, s12, v0
	v_addc_co_u32_e32 v1, vcc, v1, v3, vcc
	global_load_dword v10, v[0:1], off
	global_load_dword v138, v111, s[2:3] offset:2592
	v_add_co_u32_e32 v5, vcc, s12, v0
	v_addc_co_u32_e32 v6, vcc, v1, v3, vcc
	global_load_dword v11, v[5:6], off
	s_load_dwordx4 s[8:11], s[10:11], 0x0
	global_load_dword v132, v111, s[2:3] offset:240
	global_load_dword v131, v111, s[2:3] offset:1104
	;; [unrolled: 1-line block ×11, first 2 shown]
	v_mov_b32_e32 v0, s3
	v_add_co_u32_e32 v68, vcc, s2, v111
	s_movk_i32 s14, 0x1000
	v_addc_co_u32_e32 v69, vcc, 0, v0, vcc
	v_add_co_u32_e32 v0, vcc, s14, v68
	v_addc_co_u32_e32 v1, vcc, 0, v69, vcc
	v_add_co_u32_e32 v5, vcc, s12, v5
	v_addc_co_u32_e32 v6, vcc, v6, v3, vcc
	global_load_dword v12, v[5:6], off
	global_load_dword v139, v[0:1], off offset:224
	v_add_co_u32_e32 v5, vcc, s12, v5
	v_addc_co_u32_e32 v6, vcc, v6, v3, vcc
	s_mul_i32 s16, s1, 0x6c0
	s_waitcnt vmcnt(21)
	v_lshrrev_b32_e32 v13, 16, v7
	s_waitcnt vmcnt(20)
	v_mul_f16_sdwa v14, v144, v7 dst_sel:DWORD dst_unused:UNUSED_PAD src0_sel:WORD_1 src1_sel:DWORD
	v_mul_f16_sdwa v15, v144, v13 dst_sel:DWORD dst_unused:UNUSED_PAD src0_sel:WORD_1 src1_sel:DWORD
	v_fma_f16 v13, v144, v13, -v14
	s_waitcnt vmcnt(19)
	v_lshrrev_b32_e32 v14, 16, v8
	s_waitcnt vmcnt(18)
	v_mul_f16_sdwa v16, v143, v8 dst_sel:DWORD dst_unused:UNUSED_PAD src0_sel:WORD_1 src1_sel:DWORD
	v_fma_f16 v7, v144, v7, v15
	v_mul_f16_sdwa v15, v143, v14 dst_sel:DWORD dst_unused:UNUSED_PAD src0_sel:WORD_1 src1_sel:DWORD
	v_fma_f16 v14, v143, v14, -v16
	s_waitcnt vmcnt(17)
	v_lshrrev_b32_e32 v16, 16, v9
	s_waitcnt vmcnt(16)
	v_mul_f16_sdwa v17, v140, v9 dst_sel:DWORD dst_unused:UNUSED_PAD src0_sel:WORD_1 src1_sel:DWORD
	v_pack_b32_f16 v13, v7, v13
	v_fma_f16 v7, v143, v8, v15
	v_mul_f16_sdwa v8, v140, v16 dst_sel:DWORD dst_unused:UNUSED_PAD src0_sel:WORD_1 src1_sel:DWORD
	v_fma_f16 v15, v140, v16, -v17
	v_pack_b32_f16 v7, v7, v14
	v_fma_f16 v8, v140, v9, v8
	s_waitcnt vmcnt(15)
	v_lshrrev_b32_e32 v16, 16, v10
	ds_write_b32 v111, v7 offset:864
	v_pack_b32_f16 v7, v8, v15
	ds_write_b32 v111, v7 offset:1728
	s_waitcnt vmcnt(14)
	v_mul_f16_sdwa v7, v138, v16 dst_sel:DWORD dst_unused:UNUSED_PAD src0_sel:WORD_1 src1_sel:DWORD
	v_mul_f16_sdwa v8, v138, v10 dst_sel:DWORD dst_unused:UNUSED_PAD src0_sel:WORD_1 src1_sel:DWORD
	v_fma_f16 v7, v138, v10, v7
	v_fma_f16 v8, v138, v16, -v8
	v_pack_b32_f16 v7, v7, v8
	ds_write_b32 v111, v7 offset:2592
	v_mad_u64_u32 v[7:8], s[14:15], s0, v134, 0
	global_load_dword v14, v[5:6], off
	global_load_dword v137, v[0:1], off offset:1088
	v_add_co_u32_e32 v5, vcc, s12, v5
	v_mad_u64_u32 v[8:9], s[14:15], s1, v134, v[8:9]
	v_addc_co_u32_e32 v6, vcc, v6, v3, vcc
	global_load_dword v9, v[5:6], off
	global_load_dword v136, v[0:1], off offset:1952
	v_lshlrev_b64 v[7:8], 2, v[7:8]
	global_load_dword v135, v85, s[2:3]
	v_add_co_u32_e32 v7, vcc, v2, v7
	v_addc_co_u32_e32 v8, vcc, v4, v8, vcc
	global_load_dword v7, v[7:8], off
	v_mov_b32_e32 v15, 0x6c0
	v_mad_u64_u32 v[5:6], s[14:15], s0, v15, v[5:6]
	s_mul_hi_u32 s15, s0, 0xfffff8a4
	s_mul_i32 s14, s1, 0xfffff8a4
	v_add_u32_e32 v6, s16, v6
	s_sub_i32 s15, s15, s0
	global_load_dword v8, v[5:6], off
	global_load_dword v133, v[0:1], off offset:3680
	s_add_i32 s15, s15, s14
	s_mul_i32 s14, s0, 0xfffff8a4
	s_lshl_b64 s[14:15], s[14:15], 2
	v_mov_b32_e32 v16, s15
	v_add_co_u32_e32 v5, vcc, s14, v5
	v_addc_co_u32_e32 v6, vcc, v6, v16, vcc
	global_load_dword v17, v[5:6], off
	s_waitcnt vmcnt(22)
	v_lshrrev_b32_e32 v10, 16, v11
	s_waitcnt vmcnt(13)
	v_mul_f16_sdwa v18, v141, v10 dst_sel:DWORD dst_unused:UNUSED_PAD src0_sel:WORD_1 src1_sel:DWORD
	v_fma_f16 v18, v141, v11, v18
	v_mul_f16_sdwa v11, v141, v11 dst_sel:DWORD dst_unused:UNUSED_PAD src0_sel:WORD_1 src1_sel:DWORD
	v_fma_f16 v10, v141, v10, -v11
	v_pack_b32_f16 v10, v18, v10
	v_add_co_u32_e32 v5, vcc, s12, v5
	ds_write_b32 v111, v10 offset:3456
	v_addc_co_u32_e32 v6, vcc, v6, v3, vcc
	global_load_dword v11, v[5:6], off
	global_load_dword v129, v[0:1], off offset:464
	global_load_dword v126, v[0:1], off offset:1328
	;; [unrolled: 1-line block ×5, first 2 shown]
	v_add_co_u32_e32 v5, vcc, s12, v5
	v_addc_co_u32_e32 v6, vcc, v6, v3, vcc
	global_load_dword v19, v[5:6], off
	v_add_co_u32_e32 v5, vcc, s12, v5
	v_addc_co_u32_e32 v6, vcc, v6, v3, vcc
	global_load_dword v20, v[5:6], off
	v_add_co_u32_e32 v5, vcc, s12, v5
	v_addc_co_u32_e32 v6, vcc, v6, v3, vcc
	s_waitcnt vmcnt(18)
	v_lshrrev_b32_e32 v10, 16, v12
	global_load_dword v21, v[5:6], off
	s_waitcnt vmcnt(18)
	v_mul_f16_sdwa v18, v139, v10 dst_sel:DWORD dst_unused:UNUSED_PAD src0_sel:WORD_1 src1_sel:DWORD
	v_add_co_u32_e32 v5, vcc, s12, v5
	v_fma_f16 v18, v139, v12, v18
	v_mul_f16_sdwa v12, v139, v12 dst_sel:DWORD dst_unused:UNUSED_PAD src0_sel:WORD_1 src1_sel:DWORD
	v_addc_co_u32_e32 v6, vcc, v6, v3, vcc
	v_fma_f16 v10, v139, v10, -v12
	global_load_dword v12, v[5:6], off
	v_add_co_u32_e32 v5, vcc, s12, v5
	v_addc_co_u32_e32 v6, vcc, v6, v3, vcc
	v_pack_b32_f16 v10, v18, v10
	global_load_dword v18, v[5:6], off
	ds_write_b32 v111, v10 offset:4320
	v_add_co_u32_e32 v5, vcc, s12, v5
	v_addc_co_u32_e32 v6, vcc, v6, v3, vcc
	s_waitcnt vmcnt(19)
	v_lshrrev_b32_e32 v10, 16, v14
	s_waitcnt vmcnt(18)
	v_mul_f16_sdwa v22, v137, v10 dst_sel:DWORD dst_unused:UNUSED_PAD src0_sel:WORD_1 src1_sel:DWORD
	v_fma_f16 v22, v137, v14, v22
	v_mul_f16_sdwa v14, v137, v14 dst_sel:DWORD dst_unused:UNUSED_PAD src0_sel:WORD_1 src1_sel:DWORD
	v_fma_f16 v10, v137, v10, -v14
	v_pack_b32_f16 v10, v22, v10
	ds_write_b32 v111, v10 offset:5184
	s_waitcnt vmcnt(17)
	v_lshrrev_b32_e32 v10, 16, v9
	s_waitcnt vmcnt(16)
	v_mul_f16_sdwa v14, v136, v10 dst_sel:DWORD dst_unused:UNUSED_PAD src0_sel:WORD_1 src1_sel:DWORD
	v_fma_f16 v14, v136, v9, v14
	v_mul_f16_sdwa v9, v136, v9 dst_sel:DWORD dst_unused:UNUSED_PAD src0_sel:WORD_1 src1_sel:DWORD
	v_fma_f16 v9, v136, v10, -v9
	v_pack_b32_f16 v9, v14, v9
	ds_write_b32 v111, v9 offset:6048
	s_waitcnt vmcnt(14)
	v_lshrrev_b32_e32 v9, 16, v7
	v_mul_f16_sdwa v10, v135, v9 dst_sel:DWORD dst_unused:UNUSED_PAD src0_sel:WORD_1 src1_sel:DWORD
	v_fma_f16 v10, v135, v7, v10
	v_mul_f16_sdwa v7, v135, v7 dst_sel:DWORD dst_unused:UNUSED_PAD src0_sel:WORD_1 src1_sel:DWORD
	v_fma_f16 v7, v135, v9, -v7
	v_pack_b32_f16 v7, v10, v7
	ds_write_b32 v111, v7 offset:6912
	global_load_dword v124, v[0:1], off offset:3056
	global_load_dword v123, v[0:1], off offset:3920
	global_load_dword v112, v[0:1], off offset:3296
	global_load_dword v10, v[5:6], off
	s_waitcnt vmcnt(17)
	v_lshrrev_b32_e32 v7, 16, v8
	s_waitcnt vmcnt(16)
	v_mul_f16_sdwa v9, v133, v7 dst_sel:DWORD dst_unused:UNUSED_PAD src0_sel:WORD_1 src1_sel:DWORD
	v_fma_f16 v9, v133, v8, v9
	v_mul_f16_sdwa v8, v133, v8 dst_sel:DWORD dst_unused:UNUSED_PAD src0_sel:WORD_1 src1_sel:DWORD
	v_fma_f16 v7, v133, v7, -v8
	v_pack_b32_f16 v7, v9, v7
	ds_write_b32 v111, v7 offset:7776
	v_add_co_u32_e32 v5, vcc, s12, v5
	s_waitcnt vmcnt(15)
	v_lshrrev_b32_e32 v7, 16, v17
	v_mul_f16_sdwa v8, v132, v7 dst_sel:DWORD dst_unused:UNUSED_PAD src0_sel:WORD_1 src1_sel:DWORD
	v_mul_f16_sdwa v9, v132, v17 dst_sel:DWORD dst_unused:UNUSED_PAD src0_sel:WORD_1 src1_sel:DWORD
	v_fma_f16 v8, v132, v17, v8
	v_fma_f16 v7, v132, v7, -v9
	v_pack_b32_f16 v7, v8, v7
	ds_write2_b32 v111, v13, v7 offset1:60
	s_waitcnt vmcnt(14)
	v_lshrrev_b32_e32 v7, 16, v11
	v_mul_f16_sdwa v8, v131, v7 dst_sel:DWORD dst_unused:UNUSED_PAD src0_sel:WORD_1 src1_sel:DWORD
	v_addc_co_u32_e32 v6, vcc, v6, v3, vcc
	v_fma_f16 v8, v131, v11, v8
	v_mul_f16_sdwa v9, v131, v11 dst_sel:DWORD dst_unused:UNUSED_PAD src0_sel:WORD_1 src1_sel:DWORD
	global_load_dword v11, v[5:6], off
	v_fma_f16 v7, v131, v7, -v9
	v_pack_b32_f16 v13, v8, v7
	s_waitcnt vmcnt(9)
	v_lshrrev_b32_e32 v7, 16, v19
	v_mul_f16_sdwa v8, v130, v7 dst_sel:DWORD dst_unused:UNUSED_PAD src0_sel:WORD_1 src1_sel:DWORD
	v_mul_f16_sdwa v9, v130, v19 dst_sel:DWORD dst_unused:UNUSED_PAD src0_sel:WORD_1 src1_sel:DWORD
	v_fma_f16 v8, v130, v19, v8
	v_fma_f16 v7, v130, v7, -v9
	v_pack_b32_f16 v14, v8, v7
	s_waitcnt vmcnt(8)
	v_lshrrev_b32_e32 v7, 16, v20
	v_mul_f16_sdwa v8, v128, v7 dst_sel:DWORD dst_unused:UNUSED_PAD src0_sel:WORD_1 src1_sel:DWORD
	v_mul_f16_sdwa v9, v128, v20 dst_sel:DWORD dst_unused:UNUSED_PAD src0_sel:WORD_1 src1_sel:DWORD
	v_fma_f16 v8, v128, v20, v8
	v_fma_f16 v7, v128, v7, -v9
	v_pack_b32_f16 v17, v8, v7
	s_waitcnt vmcnt(7)
	v_lshrrev_b32_e32 v7, 16, v21
	v_mul_f16_sdwa v8, v127, v7 dst_sel:DWORD dst_unused:UNUSED_PAD src0_sel:WORD_1 src1_sel:DWORD
	v_mul_f16_sdwa v9, v127, v21 dst_sel:DWORD dst_unused:UNUSED_PAD src0_sel:WORD_1 src1_sel:DWORD
	v_add_co_u32_e32 v5, vcc, s12, v5
	v_fma_f16 v8, v127, v21, v8
	v_fma_f16 v7, v127, v7, -v9
	v_addc_co_u32_e32 v6, vcc, v6, v3, vcc
	v_pack_b32_f16 v19, v8, v7
	s_waitcnt vmcnt(6)
	v_lshrrev_b32_e32 v7, 16, v12
	global_load_dword v22, v[5:6], off
	v_mul_f16_sdwa v8, v129, v7 dst_sel:DWORD dst_unused:UNUSED_PAD src0_sel:WORD_1 src1_sel:DWORD
	v_mul_f16_sdwa v9, v129, v12 dst_sel:DWORD dst_unused:UNUSED_PAD src0_sel:WORD_1 src1_sel:DWORD
	v_add_co_u32_e32 v5, vcc, s14, v5
	v_fma_f16 v8, v129, v12, v8
	v_fma_f16 v7, v129, v7, -v9
	s_waitcnt vmcnt(6)
	v_lshrrev_b32_e32 v20, 16, v18
	v_addc_co_u32_e32 v6, vcc, v6, v16, vcc
	v_pack_b32_f16 v12, v8, v7
	v_mul_f16_sdwa v7, v126, v20 dst_sel:DWORD dst_unused:UNUSED_PAD src0_sel:WORD_1 src1_sel:DWORD
	global_load_dword v16, v[5:6], off
	v_fma_f16 v21, v126, v18, v7
	v_mad_u64_u32 v[7:8], s[18:19], s0, v121, 0
	v_add_co_u32_e32 v5, vcc, s12, v5
	v_addc_co_u32_e32 v6, vcc, v6, v3, vcc
	global_load_dword v23, v[5:6], off
	v_mad_u64_u32 v[8:9], s[18:19], s1, v121, v[8:9]
	v_add_co_u32_e32 v5, vcc, s12, v5
	v_addc_co_u32_e32 v6, vcc, v6, v3, vcc
	global_load_dword v9, v[5:6], off
	v_lshlrev_b64 v[7:8], 2, v[7:8]
	v_mul_f16_sdwa v18, v126, v18 dst_sel:DWORD dst_unused:UNUSED_PAD src0_sel:WORD_1 src1_sel:DWORD
	v_add_co_u32_e32 v7, vcc, v2, v7
	v_addc_co_u32_e32 v8, vcc, v4, v8, vcc
	global_load_dword v7, v[7:8], off
	v_mad_u64_u32 v[4:5], s[0:1], s0, v15, v[5:6]
	v_fma_f16 v2, v126, v20, -v18
	v_pack_b32_f16 v15, v21, v2
	v_add_u32_e32 v5, s16, v5
	global_load_dword v8, v[4:5], off
	s_waitcnt vmcnt(7)
	v_lshrrev_b32_e32 v2, 16, v10
	v_mul_f16_sdwa v6, v125, v2 dst_sel:DWORD dst_unused:UNUSED_PAD src0_sel:WORD_1 src1_sel:DWORD
	v_add_co_u32_e32 v4, vcc, s12, v4
	v_fma_f16 v6, v125, v10, v6
	v_mul_f16_sdwa v10, v125, v10 dst_sel:DWORD dst_unused:UNUSED_PAD src0_sel:WORD_1 src1_sel:DWORD
	v_addc_co_u32_e32 v5, vcc, v5, v3, vcc
	v_fma_f16 v2, v125, v2, -v10
	global_load_dword v10, v[4:5], off
	v_add_co_u32_e32 v4, vcc, s12, v4
	v_addc_co_u32_e32 v5, vcc, v5, v3, vcc
	global_load_dword v20, v[4:5], off
	global_load_dword v115, v[0:1], off offset:2432
	v_add_co_u32_e32 v4, vcc, s12, v4
	v_addc_co_u32_e32 v5, vcc, v5, v3, vcc
	global_load_dword v21, v[4:5], off
	v_pack_b32_f16 v18, v6, v2
	s_waitcnt vmcnt(10)
	v_lshrrev_b32_e32 v2, 16, v11
	v_add_co_u32_e32 v4, vcc, s12, v4
	v_mul_f16_sdwa v6, v124, v2 dst_sel:DWORD dst_unused:UNUSED_PAD src0_sel:WORD_1 src1_sel:DWORD
	v_addc_co_u32_e32 v5, vcc, v5, v3, vcc
	v_fma_f16 v6, v124, v11, v6
	v_mul_f16_sdwa v11, v124, v11 dst_sel:DWORD dst_unused:UNUSED_PAD src0_sel:WORD_1 src1_sel:DWORD
	global_load_dword v24, v[4:5], off
	v_fma_f16 v11, v124, v2, -v11
	v_add_co_u32_e32 v2, vcc, s12, v4
	v_addc_co_u32_e32 v3, vcc, v5, v3, vcc
	v_add_co_u32_e32 v4, vcc, 0x2000, v68
	global_load_dword v25, v[2:3], off
	v_addc_co_u32_e32 v5, vcc, 0, v69, vcc
	global_load_dword v113, v[4:5], off offset:64
	s_waitcnt vmcnt(12)
	v_lshrrev_b32_e32 v4, 16, v22
	v_pack_b32_f16 v11, v6, v11
	v_mul_f16_sdwa v5, v123, v4 dst_sel:DWORD dst_unused:UNUSED_PAD src0_sel:WORD_1 src1_sel:DWORD
	v_mul_f16_sdwa v6, v123, v22 dst_sel:DWORD dst_unused:UNUSED_PAD src0_sel:WORD_1 src1_sel:DWORD
	v_fma_f16 v5, v123, v22, v5
	v_fma_f16 v4, v123, v4, -v6
	v_pack_b32_f16 v22, v5, v4
	v_cmp_gt_u16_e64 s[0:1], 36, v142
	s_waitcnt vmcnt(11)
	v_lshrrev_b32_e32 v4, 16, v16
	v_mul_f16_sdwa v5, v122, v4 dst_sel:DWORD dst_unused:UNUSED_PAD src0_sel:WORD_1 src1_sel:DWORD
	v_mul_f16_sdwa v6, v122, v16 dst_sel:DWORD dst_unused:UNUSED_PAD src0_sel:WORD_1 src1_sel:DWORD
	v_fma_f16 v5, v122, v16, v5
	v_fma_f16 v4, v122, v4, -v6
	v_pack_b32_f16 v4, v5, v4
	ds_write_b32 v111, v4 offset:480
	s_waitcnt vmcnt(10)
	v_lshrrev_b32_e32 v4, 16, v23
	v_mul_f16_sdwa v5, v120, v4 dst_sel:DWORD dst_unused:UNUSED_PAD src0_sel:WORD_1 src1_sel:DWORD
	v_mul_f16_sdwa v6, v120, v23 dst_sel:DWORD dst_unused:UNUSED_PAD src0_sel:WORD_1 src1_sel:DWORD
	v_fma_f16 v5, v120, v23, v5
	v_fma_f16 v4, v120, v4, -v6
	v_pack_b32_f16 v5, v5, v4
	v_add_u32_e32 v4, 0x400, v111
	ds_write2_b32 v4, v13, v5 offset0:20 offset1:80
	s_waitcnt vmcnt(9)
	v_lshrrev_b32_e32 v5, 16, v9
	v_mul_f16_sdwa v6, v119, v5 dst_sel:DWORD dst_unused:UNUSED_PAD src0_sel:WORD_1 src1_sel:DWORD
	v_fma_f16 v6, v119, v9, v6
	v_mul_f16_sdwa v9, v119, v9 dst_sel:DWORD dst_unused:UNUSED_PAD src0_sel:WORD_1 src1_sel:DWORD
	v_fma_f16 v5, v119, v5, -v9
	v_pack_b32_f16 v5, v6, v5
	v_add_u32_e32 v6, 0x600, v111
	ds_write2_b32 v6, v14, v5 offset0:108 offset1:168
	s_waitcnt vmcnt(8)
	v_lshrrev_b32_e32 v5, 16, v7
	v_mul_f16_sdwa v6, v118, v5 dst_sel:DWORD dst_unused:UNUSED_PAD src0_sel:WORD_1 src1_sel:DWORD
	v_fma_f16 v6, v118, v7, v6
	v_mul_f16_sdwa v7, v118, v7 dst_sel:DWORD dst_unused:UNUSED_PAD src0_sel:WORD_1 src1_sel:DWORD
	;; [unrolled: 9-line block ×3, first 2 shown]
	v_fma_f16 v6, v116, v6, -v8
	v_pack_b32_f16 v6, v7, v6
	v_add_u32_e32 v8, 0xc00, v111
	ds_write2_b32 v8, v19, v6 offset0:156 offset1:216
	s_waitcnt vmcnt(6)
	v_lshrrev_b32_e32 v6, 16, v10
	v_mul_f16_sdwa v7, v117, v6 dst_sel:DWORD dst_unused:UNUSED_PAD src0_sel:WORD_1 src1_sel:DWORD
	v_mul_f16_sdwa v9, v117, v10 dst_sel:DWORD dst_unused:UNUSED_PAD src0_sel:WORD_1 src1_sel:DWORD
	v_fma_f16 v7, v117, v10, v7
	v_fma_f16 v6, v117, v6, -v9
	v_pack_b32_f16 v7, v7, v6
	v_add_u32_e32 v6, 0x1000, v111
	ds_write2_b32 v6, v12, v7 offset0:116 offset1:176
	s_waitcnt vmcnt(5)
	v_lshrrev_b32_e32 v7, 16, v20
	v_mul_f16_sdwa v9, v114, v7 dst_sel:DWORD dst_unused:UNUSED_PAD src0_sel:WORD_1 src1_sel:DWORD
	v_mul_f16_sdwa v10, v114, v20 dst_sel:DWORD dst_unused:UNUSED_PAD src0_sel:WORD_1 src1_sel:DWORD
	v_fma_f16 v9, v114, v20, v9
	;; [unrolled: 9-line block ×4, first 2 shown]
	v_fma_f16 v10, v112, v10, -v13
	v_pack_b32_f16 v10, v12, v10
	v_add_u32_e32 v12, 0x1a00, v111
	ds_write2_b32 v12, v11, v10 offset0:124 offset1:184
	s_waitcnt vmcnt(1)
	v_lshrrev_b32_e32 v10, 16, v25
	s_waitcnt vmcnt(0)
	v_mul_f16_sdwa v11, v113, v10 dst_sel:DWORD dst_unused:UNUSED_PAD src0_sel:WORD_1 src1_sel:DWORD
	v_mul_f16_sdwa v12, v113, v25 dst_sel:DWORD dst_unused:UNUSED_PAD src0_sel:WORD_1 src1_sel:DWORD
	v_fma_f16 v11, v113, v25, v11
	v_fma_f16 v10, v113, v10, -v12
	v_pack_b32_f16 v10, v11, v10
	v_add_u32_e32 v20, 0x1e00, v111
	ds_write2_b32 v20, v22, v10 offset0:84 offset1:144
	s_and_saveexec_b64 s[16:17], s[0:1]
	s_cbranch_execz .LBB0_3
; %bb.2:
	v_mov_b32_e32 v10, s15
	v_add_co_u32_e32 v2, vcc, s14, v2
	v_addc_co_u32_e32 v3, vcc, v3, v10, vcc
	global_load_dword v10, v[2:3], off
	global_load_dword v11, v[68:69], off offset:720
	v_mov_b32_e32 v12, s13
	v_add_co_u32_e32 v2, vcc, s12, v2
	v_addc_co_u32_e32 v3, vcc, v3, v12, vcc
	global_load_dword v13, v[2:3], off
	global_load_dword v14, v[68:69], off offset:1584
	v_add_co_u32_e32 v2, vcc, s12, v2
	v_addc_co_u32_e32 v3, vcc, v3, v12, vcc
	global_load_dword v15, v[2:3], off
	global_load_dword v16, v[68:69], off offset:2448
	;; [unrolled: 4-line block ×8, first 2 shown]
	v_add_co_u32_e32 v0, vcc, s12, v2
	v_addc_co_u32_e32 v1, vcc, v3, v12, vcc
	global_load_dword v2, v[0:1], off
	v_add_co_u32_e32 v0, vcc, 0x2000, v68
	v_addc_co_u32_e32 v1, vcc, 0, v69, vcc
	global_load_dword v0, v[0:1], off offset:304
	v_add_u32_e32 v1, 0x280, v111
	s_waitcnt vmcnt(19)
	v_lshrrev_b32_e32 v3, 16, v10
	s_waitcnt vmcnt(18)
	v_mul_f16_sdwa v12, v11, v10 dst_sel:DWORD dst_unused:UNUSED_PAD src0_sel:WORD_1 src1_sel:DWORD
	v_mul_f16_sdwa v30, v11, v3 dst_sel:DWORD dst_unused:UNUSED_PAD src0_sel:WORD_1 src1_sel:DWORD
	v_fma_f16 v3, v11, v3, -v12
	v_fma_f16 v10, v11, v10, v30
	v_pack_b32_f16 v3, v10, v3
	s_waitcnt vmcnt(17)
	v_lshrrev_b32_e32 v12, 16, v13
	s_waitcnt vmcnt(16)
	v_mul_f16_sdwa v31, v14, v13 dst_sel:DWORD dst_unused:UNUSED_PAD src0_sel:WORD_1 src1_sel:DWORD
	v_mul_f16_sdwa v11, v14, v12 dst_sel:DWORD dst_unused:UNUSED_PAD src0_sel:WORD_1 src1_sel:DWORD
	v_fma_f16 v12, v14, v12, -v31
	v_fma_f16 v10, v14, v13, v11
	s_waitcnt vmcnt(15)
	v_lshrrev_b32_e32 v30, 16, v15
	v_pack_b32_f16 v10, v10, v12
	s_waitcnt vmcnt(14)
	v_mul_f16_sdwa v31, v16, v15 dst_sel:DWORD dst_unused:UNUSED_PAD src0_sel:WORD_1 src1_sel:DWORD
	v_mul_f16_sdwa v11, v16, v30 dst_sel:DWORD dst_unused:UNUSED_PAD src0_sel:WORD_1 src1_sel:DWORD
	ds_write2_b32 v1, v3, v10 offset0:20 offset1:236
	s_waitcnt vmcnt(13)
	v_lshrrev_b32_e32 v14, 16, v17
	s_waitcnt vmcnt(12)
	v_mul_f16_sdwa v3, v18, v14 dst_sel:DWORD dst_unused:UNUSED_PAD src0_sel:WORD_1 src1_sel:DWORD
	v_mul_f16_sdwa v10, v18, v17 dst_sel:DWORD dst_unused:UNUSED_PAD src0_sel:WORD_1 src1_sel:DWORD
	v_fma_f16 v13, v16, v30, -v31
	v_fma_f16 v11, v16, v15, v11
	v_fma_f16 v3, v18, v17, v3
	v_fma_f16 v10, v18, v14, -v10
	v_pack_b32_f16 v1, v11, v13
	v_pack_b32_f16 v3, v3, v10
	v_add_u32_e32 v10, 0x900, v111
	ds_write2_b32 v10, v1, v3 offset0:36 offset1:252
	s_waitcnt vmcnt(11)
	v_lshrrev_b32_e32 v1, 16, v19
	s_waitcnt vmcnt(10)
	v_mul_f16_sdwa v3, v21, v1 dst_sel:DWORD dst_unused:UNUSED_PAD src0_sel:WORD_1 src1_sel:DWORD
	v_mul_f16_sdwa v10, v21, v19 dst_sel:DWORD dst_unused:UNUSED_PAD src0_sel:WORD_1 src1_sel:DWORD
	v_fma_f16 v3, v21, v19, v3
	v_fma_f16 v1, v21, v1, -v10
	v_pack_b32_f16 v1, v3, v1
	s_waitcnt vmcnt(9)
	v_lshrrev_b32_e32 v3, 16, v22
	s_waitcnt vmcnt(8)
	v_mul_f16_sdwa v10, v23, v3 dst_sel:DWORD dst_unused:UNUSED_PAD src0_sel:WORD_1 src1_sel:DWORD
	v_mul_f16_sdwa v11, v23, v22 dst_sel:DWORD dst_unused:UNUSED_PAD src0_sel:WORD_1 src1_sel:DWORD
	v_fma_f16 v10, v23, v22, v10
	v_fma_f16 v3, v23, v3, -v11
	v_pack_b32_f16 v3, v10, v3
	ds_write2_b32 v6, v1, v3 offset0:20 offset1:236
	s_waitcnt vmcnt(7)
	v_lshrrev_b32_e32 v1, 16, v24
	s_waitcnt vmcnt(6)
	v_mul_f16_sdwa v3, v25, v1 dst_sel:DWORD dst_unused:UNUSED_PAD src0_sel:WORD_1 src1_sel:DWORD
	v_mul_f16_sdwa v10, v25, v24 dst_sel:DWORD dst_unused:UNUSED_PAD src0_sel:WORD_1 src1_sel:DWORD
	v_fma_f16 v3, v25, v24, v3
	v_fma_f16 v1, v25, v1, -v10
	v_pack_b32_f16 v1, v3, v1
	s_waitcnt vmcnt(5)
	v_lshrrev_b32_e32 v3, 16, v26
	s_waitcnt vmcnt(4)
	v_mul_f16_sdwa v10, v27, v3 dst_sel:DWORD dst_unused:UNUSED_PAD src0_sel:WORD_1 src1_sel:DWORD
	v_mul_f16_sdwa v11, v27, v26 dst_sel:DWORD dst_unused:UNUSED_PAD src0_sel:WORD_1 src1_sel:DWORD
	v_fma_f16 v10, v27, v26, v10
	v_fma_f16 v3, v27, v3, -v11
	v_pack_b32_f16 v3, v10, v3
	v_add_u32_e32 v10, 0x1700, v111
	ds_write2_b32 v10, v1, v3 offset0:4 offset1:220
	s_waitcnt vmcnt(3)
	v_lshrrev_b32_e32 v1, 16, v28
	s_waitcnt vmcnt(2)
	v_mul_f16_sdwa v3, v29, v1 dst_sel:DWORD dst_unused:UNUSED_PAD src0_sel:WORD_1 src1_sel:DWORD
	v_mul_f16_sdwa v10, v29, v28 dst_sel:DWORD dst_unused:UNUSED_PAD src0_sel:WORD_1 src1_sel:DWORD
	v_fma_f16 v3, v29, v28, v3
	v_fma_f16 v1, v29, v1, -v10
	v_pack_b32_f16 v1, v3, v1
	s_waitcnt vmcnt(1)
	v_lshrrev_b32_e32 v3, 16, v2
	s_waitcnt vmcnt(0)
	v_mul_f16_sdwa v10, v0, v3 dst_sel:DWORD dst_unused:UNUSED_PAD src0_sel:WORD_1 src1_sel:DWORD
	v_fma_f16 v10, v0, v2, v10
	v_mul_f16_sdwa v2, v0, v2 dst_sel:DWORD dst_unused:UNUSED_PAD src0_sel:WORD_1 src1_sel:DWORD
	v_fma_f16 v0, v0, v3, -v2
	v_pack_b32_f16 v0, v10, v0
	v_add_u32_e32 v2, 0x1d80, v111
	ds_write2_b32 v2, v1, v0 offset0:20 offset1:236
.LBB0_3:
	s_or_b64 exec, exec, s[16:17]
	v_add_u32_e32 v0, 0x800, v111
	s_waitcnt lgkmcnt(0)
	; wave barrier
	s_waitcnt lgkmcnt(0)
	ds_read2_b32 v[38:39], v111 offset1:60
	ds_read2_b32 v[34:35], v111 offset0:120 offset1:216
	ds_read2_b32 v[36:37], v4 offset0:176 offset1:236
	;; [unrolled: 1-line block ×4, first 2 shown]
	v_add_u32_e32 v0, 0xe00, v111
	ds_read2_b32 v[10:11], v0 offset0:88 offset1:184
	ds_read2_b32 v[24:25], v9 offset0:16 offset1:76
	;; [unrolled: 1-line block ×4, first 2 shown]
	v_add_u32_e32 v0, 0x1c00, v111
	ds_read2_b32 v[14:15], v0 offset0:56 offset1:152
	ds_read2_b32 v[30:31], v4 offset0:20 offset1:80
	;; [unrolled: 1-line block ×6, first 2 shown]
	s_load_dwordx2 s[4:5], s[4:5], 0x8
                                        ; implicit-def: $vgpr2
                                        ; implicit-def: $vgpr6
                                        ; implicit-def: $vgpr0
                                        ; implicit-def: $vgpr4
                                        ; implicit-def: $vgpr8
	s_and_saveexec_b64 s[12:13], s[0:1]
	s_cbranch_execz .LBB0_5
; %bb.4:
	v_add_u32_e32 v0, 0x280, v111
	ds_read2_b32 v[2:3], v0 offset0:20 offset1:236
	v_add_u32_e32 v0, 0x900, v111
	ds_read2_b32 v[6:7], v0 offset0:36 offset1:252
	v_add_u32_e32 v0, 0x1000, v111
	v_add_u32_e32 v4, 0x1700, v111
	v_add_u32_e32 v8, 0x1d80, v111
	ds_read2_b32 v[0:1], v0 offset0:20 offset1:236
	ds_read2_b32 v[4:5], v4 offset0:4 offset1:220
	;; [unrolled: 1-line block ×3, first 2 shown]
.LBB0_5:
	s_or_b64 exec, exec, s[12:13]
	s_movk_i32 s12, 0xb4
	s_waitcnt lgkmcnt(0)
	v_add_f16_e32 v43, v22, v24
	v_add_co_u32_e32 v40, vcc, s12, v142
	v_fma_f16 v43, v43, -0.5, v38
	v_sub_f16_sdwa v44, v36, v26 dst_sel:DWORD dst_unused:UNUSED_PAD src0_sel:WORD_1 src1_sel:WORD_1
	s_movk_i32 s12, 0x3b9c
	s_mov_b32 s15, 0xbb9c
	v_fma_f16 v45, v44, s12, v43
	v_sub_f16_sdwa v46, v22, v24 dst_sel:DWORD dst_unused:UNUSED_PAD src0_sel:WORD_1 src1_sel:WORD_1
	s_movk_i32 s13, 0x38b4
	v_sub_f16_e32 v47, v26, v24
	v_sub_f16_e32 v48, v36, v22
	v_fma_f16 v43, v44, s15, v43
	s_mov_b32 s16, 0xb8b4
	v_fma_f16 v45, v46, s13, v45
	v_add_f16_e32 v47, v48, v47
	s_movk_i32 s14, 0x34f2
	v_fma_f16 v43, v46, s16, v43
	v_fma_f16 v45, v47, s14, v45
	;; [unrolled: 1-line block ×3, first 2 shown]
	v_add_f16_e32 v47, v36, v26
	v_fma_f16 v47, v47, -0.5, v38
	v_fma_f16 v48, v46, s15, v47
	v_fma_f16 v46, v46, s12, v47
	v_pk_add_f16 v42, v38, v36
	v_fma_f16 v48, v44, s13, v48
	v_sub_f16_e32 v49, v24, v26
	v_sub_f16_e32 v51, v22, v36
	v_fma_f16 v44, v44, s16, v46
	v_add_f16_sdwa v46, v22, v24 dst_sel:DWORD dst_unused:UNUSED_PAD src0_sel:WORD_1 src1_sel:WORD_1
	v_lshrrev_b32_e32 v38, 16, v38
	v_add_f16_e32 v49, v51, v49
	v_fma_f16 v46, v46, -0.5, v38
	v_sub_f16_e32 v47, v36, v26
	v_fma_f16 v48, v49, s14, v48
	v_fma_f16 v44, v49, s14, v44
	;; [unrolled: 1-line block ×3, first 2 shown]
	v_sub_f16_e32 v51, v22, v24
	v_sub_f16_sdwa v52, v36, v22 dst_sel:DWORD dst_unused:UNUSED_PAD src0_sel:WORD_1 src1_sel:WORD_1
	v_sub_f16_sdwa v53, v26, v24 dst_sel:DWORD dst_unused:UNUSED_PAD src0_sel:WORD_1 src1_sel:WORD_1
	v_fma_f16 v46, v47, s12, v46
	v_fma_f16 v49, v51, s16, v49
	v_add_f16_e32 v52, v52, v53
	v_fma_f16 v46, v51, s13, v46
	v_fma_f16 v49, v52, s14, v49
	;; [unrolled: 1-line block ×3, first 2 shown]
	v_add_f16_sdwa v52, v36, v26 dst_sel:DWORD dst_unused:UNUSED_PAD src0_sel:WORD_1 src1_sel:WORD_1
	v_fma_f16 v38, v52, -0.5, v38
	v_fma_f16 v52, v51, s12, v38
	v_sub_f16_sdwa v36, v22, v36 dst_sel:DWORD dst_unused:UNUSED_PAD src0_sel:WORD_1 src1_sel:WORD_1
	v_sub_f16_sdwa v53, v24, v26 dst_sel:DWORD dst_unused:UNUSED_PAD src0_sel:WORD_1 src1_sel:WORD_1
	v_fma_f16 v38, v51, s15, v38
	v_fma_f16 v52, v47, s16, v52
	v_add_f16_e32 v36, v36, v53
	v_fma_f16 v38, v47, s13, v38
	v_fma_f16 v52, v36, s14, v52
	;; [unrolled: 1-line block ×3, first 2 shown]
	v_add_f16_e32 v38, v11, v13
	v_fma_f16 v38, v38, -0.5, v35
	v_sub_f16_sdwa v51, v33, v15 dst_sel:DWORD dst_unused:UNUSED_PAD src0_sel:WORD_1 src1_sel:WORD_1
	v_fma_f16 v53, v51, s12, v38
	v_sub_f16_sdwa v54, v11, v13 dst_sel:DWORD dst_unused:UNUSED_PAD src0_sel:WORD_1 src1_sel:WORD_1
	v_sub_f16_e32 v55, v15, v13
	v_sub_f16_e32 v56, v33, v11
	v_fma_f16 v38, v51, s15, v38
	v_fma_f16 v53, v54, s13, v53
	v_add_f16_e32 v55, v56, v55
	v_fma_f16 v38, v54, s16, v38
	v_fma_f16 v53, v55, s14, v53
	;; [unrolled: 1-line block ×3, first 2 shown]
	v_add_f16_e32 v55, v33, v15
	v_fma_f16 v55, v55, -0.5, v35
	v_fma_f16 v56, v54, s15, v55
	v_fma_f16 v54, v54, s12, v55
	v_pk_add_f16 v47, v35, v33
	v_fma_f16 v56, v51, s13, v56
	v_sub_f16_e32 v57, v13, v15
	v_sub_f16_e32 v58, v11, v33
	v_fma_f16 v51, v51, s16, v54
	v_add_f16_sdwa v54, v11, v13 dst_sel:DWORD dst_unused:UNUSED_PAD src0_sel:WORD_1 src1_sel:WORD_1
	v_lshrrev_b32_e32 v35, 16, v35
	v_add_f16_e32 v57, v58, v57
	v_fma_f16 v54, v54, -0.5, v35
	v_sub_f16_e32 v55, v33, v15
	v_fma_f16 v56, v57, s14, v56
	v_fma_f16 v51, v57, s14, v51
	;; [unrolled: 1-line block ×3, first 2 shown]
	v_sub_f16_e32 v58, v11, v13
	v_sub_f16_sdwa v59, v33, v11 dst_sel:DWORD dst_unused:UNUSED_PAD src0_sel:WORD_1 src1_sel:WORD_1
	v_sub_f16_sdwa v60, v15, v13 dst_sel:DWORD dst_unused:UNUSED_PAD src0_sel:WORD_1 src1_sel:WORD_1
	v_fma_f16 v54, v55, s12, v54
	v_fma_f16 v57, v58, s16, v57
	v_add_f16_e32 v59, v59, v60
	v_fma_f16 v54, v58, s13, v54
	v_fma_f16 v57, v59, s14, v57
	;; [unrolled: 1-line block ×3, first 2 shown]
	v_add_f16_sdwa v59, v33, v15 dst_sel:DWORD dst_unused:UNUSED_PAD src0_sel:WORD_1 src1_sel:WORD_1
	v_fma_f16 v35, v59, -0.5, v35
	v_fma_f16 v59, v58, s12, v35
	v_sub_f16_sdwa v33, v11, v33 dst_sel:DWORD dst_unused:UNUSED_PAD src0_sel:WORD_1 src1_sel:WORD_1
	v_sub_f16_sdwa v60, v13, v15 dst_sel:DWORD dst_unused:UNUSED_PAD src0_sel:WORD_1 src1_sel:WORD_1
	v_fma_f16 v59, v55, s16, v59
	v_add_f16_e32 v33, v33, v60
	v_fma_f16 v35, v58, s15, v35
	v_fma_f16 v59, v33, s14, v59
	;; [unrolled: 1-line block ×4, first 2 shown]
	v_mul_f16_e32 v58, 0x3b9c, v59
	v_mul_f16_e32 v61, 0x34f2, v51
	s_movk_i32 s17, 0x3a79
	v_mul_f16_e32 v35, 0x3a79, v53
	v_fma_f16 v58, v56, s14, v58
	v_fma_f16 v61, v33, s12, -v61
	v_mul_f16_e32 v53, 0xb8b4, v53
	v_mul_f16_e32 v56, 0xbb9c, v56
	;; [unrolled: 1-line block ×4, first 2 shown]
	v_fma_f16 v53, v57, s17, v53
	v_fma_f16 v56, v59, s14, v56
	v_fma_f16 v33, v51, s15, -v33
	v_fma_f16 v35, v57, s13, v35
	v_fma_f16 v63, v54, s13, -v63
	v_add_f16_e32 v57, v49, v53
	v_add_f16_e32 v59, v52, v56
	;; [unrolled: 1-line block ×3, first 2 shown]
	v_mul_f16_e32 v54, 0x3a79, v54
	v_sub_f16_e32 v49, v49, v53
	v_sub_f16_e32 v53, v52, v56
	v_sub_f16_e32 v56, v36, v33
	v_add_f16_e32 v33, v23, v25
	v_add_f16_e32 v55, v45, v35
	v_fma_f16 v38, v38, s16, -v54
	v_sub_f16_e32 v65, v45, v35
	v_fma_f16 v33, v33, -0.5, v39
	v_sub_f16_sdwa v35, v37, v27 dst_sel:DWORD dst_unused:UNUSED_PAD src0_sel:WORD_1 src1_sel:WORD_1
	v_add_f16_e32 v62, v44, v61
	v_add_f16_e32 v64, v43, v63
	;; [unrolled: 1-line block ×3, first 2 shown]
	v_sub_f16_e32 v61, v44, v61
	v_sub_f16_e32 v63, v43, v63
	;; [unrolled: 1-line block ×3, first 2 shown]
	v_fma_f16 v36, v35, s12, v33
	v_sub_f16_sdwa v38, v23, v25 dst_sel:DWORD dst_unused:UNUSED_PAD src0_sel:WORD_1 src1_sel:WORD_1
	v_sub_f16_e32 v43, v27, v25
	v_sub_f16_e32 v44, v37, v23
	v_fma_f16 v33, v35, s15, v33
	v_fma_f16 v36, v38, s13, v36
	v_add_f16_e32 v43, v44, v43
	v_fma_f16 v33, v38, s16, v33
	v_fma_f16 v36, v43, s14, v36
	v_fma_f16 v33, v43, s14, v33
	v_add_f16_e32 v43, v37, v27
	v_fma_f16 v43, v43, -0.5, v39
	v_fma_f16 v44, v38, s15, v43
	v_fma_f16 v38, v38, s12, v43
	v_pk_add_f16 v67, v39, v37
	v_fma_f16 v44, v35, s13, v44
	v_sub_f16_e32 v45, v25, v27
	v_sub_f16_e32 v46, v23, v37
	v_fma_f16 v35, v35, s16, v38
	v_add_f16_sdwa v38, v23, v25 dst_sel:DWORD dst_unused:UNUSED_PAD src0_sel:WORD_1 src1_sel:WORD_1
	v_lshrrev_b32_e32 v39, 16, v39
	v_add_f16_e32 v45, v46, v45
	v_fma_f16 v38, v38, -0.5, v39
	v_sub_f16_e32 v43, v37, v27
	v_add_f16_e32 v60, v48, v58
	v_sub_f16_e32 v58, v48, v58
	v_fma_f16 v44, v45, s14, v44
	v_fma_f16 v35, v45, s14, v35
	v_fma_f16 v45, v43, s15, v38
	v_sub_f16_e32 v46, v23, v25
	v_sub_f16_sdwa v48, v37, v23 dst_sel:DWORD dst_unused:UNUSED_PAD src0_sel:WORD_1 src1_sel:WORD_1
	v_sub_f16_sdwa v52, v27, v25 dst_sel:DWORD dst_unused:UNUSED_PAD src0_sel:WORD_1 src1_sel:WORD_1
	v_fma_f16 v38, v43, s12, v38
	v_fma_f16 v45, v46, s16, v45
	v_add_f16_e32 v48, v48, v52
	v_fma_f16 v38, v46, s13, v38
	v_fma_f16 v45, v48, s14, v45
	;; [unrolled: 1-line block ×3, first 2 shown]
	v_add_f16_sdwa v48, v37, v27 dst_sel:DWORD dst_unused:UNUSED_PAD src0_sel:WORD_1 src1_sel:WORD_1
	v_fma_f16 v39, v48, -0.5, v39
	v_fma_f16 v48, v46, s12, v39
	v_sub_f16_sdwa v37, v23, v37 dst_sel:DWORD dst_unused:UNUSED_PAD src0_sel:WORD_1 src1_sel:WORD_1
	v_sub_f16_sdwa v52, v25, v27 dst_sel:DWORD dst_unused:UNUSED_PAD src0_sel:WORD_1 src1_sel:WORD_1
	v_fma_f16 v39, v46, s15, v39
	v_fma_f16 v48, v43, s16, v48
	v_add_f16_e32 v37, v37, v52
	v_fma_f16 v39, v43, s13, v39
	v_fma_f16 v48, v37, s14, v48
	;; [unrolled: 1-line block ×3, first 2 shown]
	v_add_f16_e32 v39, v16, v18
	v_fma_f16 v39, v39, -0.5, v30
	v_sub_f16_sdwa v43, v28, v20 dst_sel:DWORD dst_unused:UNUSED_PAD src0_sel:WORD_1 src1_sel:WORD_1
	v_fma_f16 v46, v43, s12, v39
	v_sub_f16_sdwa v52, v16, v18 dst_sel:DWORD dst_unused:UNUSED_PAD src0_sel:WORD_1 src1_sel:WORD_1
	v_sub_f16_e32 v71, v20, v18
	v_sub_f16_e32 v72, v28, v16
	v_fma_f16 v39, v43, s15, v39
	v_fma_f16 v46, v52, s13, v46
	v_add_f16_e32 v71, v72, v71
	v_fma_f16 v39, v52, s16, v39
	v_fma_f16 v46, v71, s14, v46
	;; [unrolled: 1-line block ×3, first 2 shown]
	v_add_f16_e32 v71, v28, v20
	v_fma_f16 v71, v71, -0.5, v30
	v_fma_f16 v72, v52, s15, v71
	v_fma_f16 v52, v52, s12, v71
	v_pk_add_f16 v75, v30, v28
	v_fma_f16 v72, v43, s13, v72
	v_sub_f16_e32 v73, v18, v20
	v_sub_f16_e32 v74, v16, v28
	v_fma_f16 v43, v43, s16, v52
	v_add_f16_sdwa v52, v16, v18 dst_sel:DWORD dst_unused:UNUSED_PAD src0_sel:WORD_1 src1_sel:WORD_1
	v_lshrrev_b32_e32 v30, 16, v30
	v_add_f16_e32 v73, v74, v73
	v_fma_f16 v52, v52, -0.5, v30
	v_sub_f16_e32 v71, v28, v20
	v_fma_f16 v72, v73, s14, v72
	v_fma_f16 v43, v73, s14, v43
	;; [unrolled: 1-line block ×3, first 2 shown]
	v_sub_f16_e32 v74, v16, v18
	v_sub_f16_sdwa v76, v28, v16 dst_sel:DWORD dst_unused:UNUSED_PAD src0_sel:WORD_1 src1_sel:WORD_1
	v_sub_f16_sdwa v77, v20, v18 dst_sel:DWORD dst_unused:UNUSED_PAD src0_sel:WORD_1 src1_sel:WORD_1
	v_fma_f16 v52, v71, s12, v52
	v_fma_f16 v73, v74, s16, v73
	v_add_f16_e32 v76, v76, v77
	v_fma_f16 v52, v74, s13, v52
	v_fma_f16 v73, v76, s14, v73
	;; [unrolled: 1-line block ×3, first 2 shown]
	v_add_f16_sdwa v76, v28, v20 dst_sel:DWORD dst_unused:UNUSED_PAD src0_sel:WORD_1 src1_sel:WORD_1
	v_fma_f16 v30, v76, -0.5, v30
	v_fma_f16 v76, v74, s12, v30
	v_sub_f16_sdwa v28, v16, v28 dst_sel:DWORD dst_unused:UNUSED_PAD src0_sel:WORD_1 src1_sel:WORD_1
	v_sub_f16_sdwa v77, v18, v20 dst_sel:DWORD dst_unused:UNUSED_PAD src0_sel:WORD_1 src1_sel:WORD_1
	v_fma_f16 v30, v74, s15, v30
	v_fma_f16 v76, v71, s16, v76
	v_add_f16_e32 v28, v28, v77
	v_fma_f16 v30, v71, s13, v30
	v_fma_f16 v76, v28, s14, v76
	;; [unrolled: 1-line block ×3, first 2 shown]
	v_mul_f16_e32 v74, 0x34f2, v43
	v_fma_f16 v74, v28, s12, -v74
	v_mul_f16_e32 v28, 0x34f2, v28
	v_mul_f16_e32 v30, 0x3a79, v46
	v_fma_f16 v28, v43, s15, -v28
	v_fma_f16 v30, v73, s13, v30
	v_mul_f16_e32 v80, 0x3a79, v39
	v_add_f16_e32 v83, v37, v28
	v_sub_f16_e32 v91, v37, v28
	v_add_f16_e32 v28, v10, v12
	v_add_f16_e32 v77, v36, v30
	v_fma_f16 v80, v52, s13, -v80
	v_sub_f16_e32 v86, v36, v30
	v_fma_f16 v28, v28, -0.5, v34
	v_sub_f16_sdwa v30, v32, v14 dst_sel:DWORD dst_unused:UNUSED_PAD src0_sel:WORD_1 src1_sel:WORD_1
	v_add_f16_e32 v79, v35, v74
	v_add_f16_e32 v81, v33, v80
	v_sub_f16_e32 v88, v35, v74
	v_sub_f16_e32 v80, v33, v80
	v_fma_f16 v33, v30, s12, v28
	v_sub_f16_sdwa v35, v10, v12 dst_sel:DWORD dst_unused:UNUSED_PAD src0_sel:WORD_1 src1_sel:WORD_1
	v_sub_f16_e32 v36, v14, v12
	v_sub_f16_e32 v37, v32, v10
	v_fma_f16 v28, v30, s15, v28
	v_fma_f16 v33, v35, s13, v33
	v_add_f16_e32 v36, v37, v36
	v_fma_f16 v28, v35, s16, v28
	v_fma_f16 v33, v36, s14, v33
	;; [unrolled: 1-line block ×3, first 2 shown]
	v_add_f16_e32 v36, v32, v14
	v_mul_f16_e32 v43, 0x3a79, v52
	v_fma_f16 v36, v36, -0.5, v34
	v_fma_f16 v39, v39, s16, -v43
	v_fma_f16 v37, v35, s15, v36
	v_fma_f16 v35, v35, s12, v36
	v_mul_f16_e32 v71, 0x3b9c, v76
	v_add_f16_e32 v84, v38, v39
	v_sub_f16_e32 v92, v38, v39
	v_pk_add_f16 v93, v34, v32
	v_fma_f16 v37, v30, s13, v37
	v_sub_f16_e32 v38, v12, v14
	v_sub_f16_e32 v39, v10, v32
	v_fma_f16 v30, v30, s16, v35
	v_add_f16_sdwa v35, v10, v12 dst_sel:DWORD dst_unused:UNUSED_PAD src0_sel:WORD_1 src1_sel:WORD_1
	v_lshrrev_b32_e32 v34, 16, v34
	v_fma_f16 v71, v72, s14, v71
	v_add_f16_e32 v38, v39, v38
	v_fma_f16 v35, v35, -0.5, v34
	v_sub_f16_e32 v36, v32, v14
	v_add_f16_e32 v78, v44, v71
	v_sub_f16_e32 v87, v44, v71
	v_fma_f16 v37, v38, s14, v37
	v_fma_f16 v30, v38, s14, v30
	;; [unrolled: 1-line block ×3, first 2 shown]
	v_sub_f16_e32 v39, v10, v12
	v_sub_f16_sdwa v43, v32, v10 dst_sel:DWORD dst_unused:UNUSED_PAD src0_sel:WORD_1 src1_sel:WORD_1
	v_sub_f16_sdwa v44, v14, v12 dst_sel:DWORD dst_unused:UNUSED_PAD src0_sel:WORD_1 src1_sel:WORD_1
	v_fma_f16 v35, v36, s12, v35
	v_fma_f16 v38, v39, s16, v38
	v_add_f16_e32 v43, v43, v44
	v_fma_f16 v35, v39, s13, v35
	v_fma_f16 v38, v43, s14, v38
	;; [unrolled: 1-line block ×3, first 2 shown]
	v_add_f16_sdwa v43, v32, v14 dst_sel:DWORD dst_unused:UNUSED_PAD src0_sel:WORD_1 src1_sel:WORD_1
	v_fma_f16 v34, v43, -0.5, v34
	v_fma_f16 v43, v39, s12, v34
	v_sub_f16_sdwa v32, v10, v32 dst_sel:DWORD dst_unused:UNUSED_PAD src0_sel:WORD_1 src1_sel:WORD_1
	v_sub_f16_sdwa v44, v12, v14 dst_sel:DWORD dst_unused:UNUSED_PAD src0_sel:WORD_1 src1_sel:WORD_1
	v_fma_f16 v34, v39, s15, v34
	v_fma_f16 v43, v36, s16, v43
	v_add_f16_e32 v32, v32, v44
	v_fma_f16 v34, v36, s13, v34
	v_mul_f16_e32 v46, 0xb8b4, v46
	v_fma_f16 v43, v32, s14, v43
	v_fma_f16 v32, v32, s14, v34
	v_add_f16_e32 v34, v17, v19
	v_fma_f16 v46, v73, s17, v46
	v_fma_f16 v34, v34, -0.5, v31
	v_sub_f16_sdwa v36, v29, v21 dst_sel:DWORD dst_unused:UNUSED_PAD src0_sel:WORD_1 src1_sel:WORD_1
	v_add_f16_e32 v82, v45, v46
	v_sub_f16_e32 v89, v45, v46
	v_fma_f16 v39, v36, s12, v34
	v_sub_f16_sdwa v44, v17, v19 dst_sel:DWORD dst_unused:UNUSED_PAD src0_sel:WORD_1 src1_sel:WORD_1
	v_sub_f16_e32 v45, v21, v19
	v_sub_f16_e32 v46, v29, v17
	v_fma_f16 v34, v36, s15, v34
	v_fma_f16 v39, v44, s13, v39
	v_add_f16_e32 v45, v46, v45
	v_fma_f16 v34, v44, s16, v34
	v_fma_f16 v39, v45, s14, v39
	;; [unrolled: 1-line block ×3, first 2 shown]
	v_add_f16_e32 v45, v29, v21
	v_mul_f16_e32 v72, 0xbb9c, v72
	v_fma_f16 v45, v45, -0.5, v31
	v_fma_f16 v72, v76, s14, v72
	v_fma_f16 v46, v44, s15, v45
	v_fma_f16 v44, v44, s12, v45
	v_add_f16_e32 v76, v48, v72
	v_sub_f16_e32 v90, v48, v72
	v_pk_add_f16 v94, v31, v29
	v_fma_f16 v46, v36, s13, v46
	v_sub_f16_e32 v48, v19, v21
	v_sub_f16_e32 v52, v17, v29
	v_fma_f16 v36, v36, s16, v44
	v_add_f16_sdwa v44, v17, v19 dst_sel:DWORD dst_unused:UNUSED_PAD src0_sel:WORD_1 src1_sel:WORD_1
	v_lshrrev_b32_e32 v31, 16, v31
	v_add_f16_e32 v48, v52, v48
	v_fma_f16 v44, v44, -0.5, v31
	v_sub_f16_e32 v45, v29, v21
	v_fma_f16 v46, v48, s14, v46
	v_fma_f16 v36, v48, s14, v36
	;; [unrolled: 1-line block ×3, first 2 shown]
	v_sub_f16_e32 v52, v17, v19
	v_sub_f16_sdwa v71, v29, v17 dst_sel:DWORD dst_unused:UNUSED_PAD src0_sel:WORD_1 src1_sel:WORD_1
	v_sub_f16_sdwa v72, v21, v19 dst_sel:DWORD dst_unused:UNUSED_PAD src0_sel:WORD_1 src1_sel:WORD_1
	v_fma_f16 v44, v45, s12, v44
	v_fma_f16 v48, v52, s16, v48
	v_add_f16_e32 v71, v71, v72
	v_fma_f16 v44, v52, s13, v44
	v_fma_f16 v48, v71, s14, v48
	;; [unrolled: 1-line block ×3, first 2 shown]
	v_add_f16_sdwa v71, v29, v21 dst_sel:DWORD dst_unused:UNUSED_PAD src0_sel:WORD_1 src1_sel:WORD_1
	v_fma_f16 v31, v71, -0.5, v31
	v_fma_f16 v71, v52, s12, v31
	v_sub_f16_sdwa v29, v17, v29 dst_sel:DWORD dst_unused:UNUSED_PAD src0_sel:WORD_1 src1_sel:WORD_1
	v_sub_f16_sdwa v72, v19, v21 dst_sel:DWORD dst_unused:UNUSED_PAD src0_sel:WORD_1 src1_sel:WORD_1
	v_fma_f16 v31, v52, s15, v31
	v_fma_f16 v71, v45, s16, v71
	v_add_f16_e32 v29, v29, v72
	v_fma_f16 v31, v45, s13, v31
	v_fma_f16 v71, v29, s14, v71
	;; [unrolled: 1-line block ×3, first 2 shown]
	v_mul_f16_e32 v52, 0x34f2, v36
	v_mul_f16_e32 v72, 0x3a79, v34
	;; [unrolled: 1-line block ×3, first 2 shown]
	v_fma_f16 v52, v29, s12, -v52
	v_fma_f16 v72, v44, s13, -v72
	v_mul_f16_e32 v29, 0x34f2, v29
	v_fma_f16 v31, v48, s13, v31
	v_add_f16_e32 v98, v28, v72
	v_fma_f16 v29, v36, s15, -v29
	v_sub_f16_e32 v106, v28, v72
	v_add_f16_e32 v28, v0, v4
	v_add_f16_e32 v95, v33, v31
	;; [unrolled: 1-line block ×3, first 2 shown]
	v_sub_f16_e32 v103, v33, v31
	v_sub_f16_e32 v109, v32, v29
	v_fma_f16 v29, v28, -0.5, v2
	v_sub_f16_sdwa v31, v6, v8 dst_sel:DWORD dst_unused:UNUSED_PAD src0_sel:WORD_1 src1_sel:WORD_1
	v_add_f16_e32 v97, v30, v52
	v_sub_f16_e32 v105, v30, v52
	v_fma_f16 v28, v31, s12, v29
	v_sub_f16_sdwa v32, v0, v4 dst_sel:DWORD dst_unused:UNUSED_PAD src0_sel:WORD_1 src1_sel:WORD_1
	v_sub_f16_e32 v30, v8, v4
	v_sub_f16_e32 v33, v6, v0
	v_fma_f16 v29, v31, s15, v29
	v_fma_f16 v28, v32, s13, v28
	v_add_f16_e32 v30, v33, v30
	v_fma_f16 v29, v32, s16, v29
	v_mul_f16_e32 v36, 0x3a79, v44
	v_fma_f16 v28, v30, s14, v28
	v_fma_f16 v29, v30, s14, v29
	v_add_f16_e32 v30, v6, v8
	v_fma_f16 v34, v34, s16, -v36
	v_fma_f16 v33, v30, -0.5, v2
	v_add_f16_e32 v102, v35, v34
	v_sub_f16_e32 v110, v35, v34
	v_fma_f16 v30, v32, s15, v33
	v_sub_f16_e32 v34, v4, v8
	v_sub_f16_e32 v35, v0, v6
	v_fma_f16 v32, v32, s12, v33
	v_fma_f16 v30, v31, s13, v30
	v_add_f16_e32 v34, v35, v34
	v_fma_f16 v31, v31, s16, v32
	v_mul_f16_e32 v45, 0x3b9c, v71
	v_mul_f16_e32 v39, 0xb8b4, v39
	v_fma_f16 v30, v34, s14, v30
	v_fma_f16 v31, v34, s14, v31
	v_add_f16_sdwa v32, v0, v4 dst_sel:DWORD dst_unused:UNUSED_PAD src0_sel:WORD_1 src1_sel:WORD_1
	v_lshrrev_b32_e32 v34, 16, v2
	v_fma_f16 v45, v46, s14, v45
	v_fma_f16 v39, v48, s17, v39
	v_fma_f16 v33, v32, -0.5, v34
	v_sub_f16_e32 v35, v6, v8
	v_add_f16_e32 v96, v37, v45
	v_add_f16_e32 v99, v38, v39
	v_sub_f16_e32 v104, v37, v45
	v_sub_f16_e32 v107, v38, v39
	v_fma_f16 v32, v35, s15, v33
	v_sub_f16_e32 v36, v0, v4
	v_sub_f16_sdwa v37, v6, v0 dst_sel:DWORD dst_unused:UNUSED_PAD src0_sel:WORD_1 src1_sel:WORD_1
	v_sub_f16_sdwa v38, v8, v4 dst_sel:DWORD dst_unused:UNUSED_PAD src0_sel:WORD_1 src1_sel:WORD_1
	v_fma_f16 v33, v35, s12, v33
	v_fma_f16 v32, v36, s16, v32
	v_add_f16_e32 v37, v37, v38
	v_fma_f16 v33, v36, s13, v33
	v_fma_f16 v32, v37, s14, v32
	;; [unrolled: 1-line block ×3, first 2 shown]
	v_add_f16_sdwa v37, v6, v8 dst_sel:DWORD dst_unused:UNUSED_PAD src0_sel:WORD_1 src1_sel:WORD_1
	v_fma_f16 v37, v37, -0.5, v34
	v_fma_f16 v34, v36, s12, v37
	v_fma_f16 v36, v36, s15, v37
	v_mul_f16_e32 v46, 0xbb9c, v46
	v_fma_f16 v34, v35, s16, v34
	v_sub_f16_sdwa v38, v0, v6 dst_sel:DWORD dst_unused:UNUSED_PAD src0_sel:WORD_1 src1_sel:WORD_1
	v_sub_f16_sdwa v39, v4, v8 dst_sel:DWORD dst_unused:UNUSED_PAD src0_sel:WORD_1 src1_sel:WORD_1
	v_fma_f16 v35, v35, s13, v36
	v_add_f16_e32 v36, v1, v5
	v_fma_f16 v46, v71, s14, v46
	v_add_f16_e32 v38, v38, v39
	v_fma_f16 v36, v36, -0.5, v3
	v_sub_f16_sdwa v37, v7, v9 dst_sel:DWORD dst_unused:UNUSED_PAD src0_sel:WORD_1 src1_sel:WORD_1
	v_add_f16_e32 v100, v43, v46
	v_sub_f16_e32 v108, v43, v46
	v_fma_f16 v34, v38, s14, v34
	v_fma_f16 v35, v38, s14, v35
	;; [unrolled: 1-line block ×3, first 2 shown]
	v_sub_f16_sdwa v39, v1, v5 dst_sel:DWORD dst_unused:UNUSED_PAD src0_sel:WORD_1 src1_sel:WORD_1
	v_sub_f16_e32 v43, v9, v5
	v_sub_f16_e32 v44, v7, v1
	v_fma_f16 v36, v37, s15, v36
	v_add_f16_e32 v43, v44, v43
	v_fma_f16 v36, v39, s16, v36
	v_fma_f16 v46, v43, s14, v36
	v_add_f16_e32 v36, v7, v9
	v_fma_f16 v38, v39, s13, v38
	v_fma_f16 v36, v36, -0.5, v3
	v_fma_f16 v44, v43, s14, v38
	v_fma_f16 v38, v39, s15, v36
	v_sub_f16_e32 v43, v5, v9
	v_sub_f16_e32 v45, v1, v7
	v_fma_f16 v36, v39, s12, v36
	v_add_f16_e32 v43, v45, v43
	v_fma_f16 v36, v37, s16, v36
	v_fma_f16 v38, v37, s13, v38
	v_fma_f16 v48, v43, s14, v36
	v_add_f16_sdwa v36, v1, v5 dst_sel:DWORD dst_unused:UNUSED_PAD src0_sel:WORD_1 src1_sel:WORD_1
	v_lshrrev_b32_e32 v37, 16, v3
	v_fma_f16 v45, v43, s14, v38
	v_fma_f16 v36, v36, -0.5, v37
	v_sub_f16_e32 v38, v7, v9
	v_fma_f16 v39, v38, s15, v36
	v_sub_f16_e32 v43, v1, v5
	v_sub_f16_sdwa v52, v7, v1 dst_sel:DWORD dst_unused:UNUSED_PAD src0_sel:WORD_1 src1_sel:WORD_1
	v_sub_f16_sdwa v71, v9, v5 dst_sel:DWORD dst_unused:UNUSED_PAD src0_sel:WORD_1 src1_sel:WORD_1
	v_fma_f16 v36, v38, s12, v36
	v_fma_f16 v39, v43, s16, v39
	v_add_f16_e32 v52, v52, v71
	v_fma_f16 v36, v43, s13, v36
	v_fma_f16 v71, v52, s14, v39
	;; [unrolled: 1-line block ×3, first 2 shown]
	v_add_f16_sdwa v36, v7, v9 dst_sel:DWORD dst_unused:UNUSED_PAD src0_sel:WORD_1 src1_sel:WORD_1
	v_fma_f16 v36, v36, -0.5, v37
	v_fma_f16 v37, v43, s12, v36
	v_sub_f16_sdwa v39, v1, v7 dst_sel:DWORD dst_unused:UNUSED_PAD src0_sel:WORD_1 src1_sel:WORD_1
	v_sub_f16_sdwa v72, v5, v9 dst_sel:DWORD dst_unused:UNUSED_PAD src0_sel:WORD_1 src1_sel:WORD_1
	v_fma_f16 v37, v38, s16, v37
	v_add_f16_e32 v39, v39, v72
	v_fma_f16 v36, v43, s15, v36
	v_fma_f16 v72, v39, s14, v37
	;; [unrolled: 1-line block ×4, first 2 shown]
	v_mul_f16_e32 v37, 0x3b9c, v72
	v_mul_f16_e32 v36, 0x3a79, v44
	v_fma_f16 v37, v45, s14, v37
	v_mul_f16_e32 v43, 0xb8b4, v44
	v_mul_f16_e32 v44, 0xbb9c, v45
	;; [unrolled: 1-line block ×3, first 2 shown]
	v_pk_add_f16 v22, v42, v22
	v_pk_add_f16 v11, v47, v11
	v_mul_f16_e32 v38, 0x34f2, v48
	v_fma_f16 v45, v48, s15, -v45
	v_mul_f16_e32 v48, 0x3a79, v52
	v_pk_add_f16 v22, v22, v24
	v_pk_add_f16 v11, v11, v13
	v_mul_f16_e32 v39, 0x3a79, v46
	v_fma_f16 v46, v46, s16, -v48
	v_mul_lo_u16_e32 v48, 10, v142
	v_pk_add_f16 v22, v22, v26
	v_pk_add_f16 v11, v11, v15
	v_add_co_u32_e32 v50, vcc, 60, v142
	v_fma_f16 v39, v52, s13, -v39
	v_lshlrev_b32_e32 v154, 2, v48
	v_pk_add_f16 v47, v22, v11
	v_pack_b32_f16 v48, v55, v57
	v_pack_b32_f16 v52, v62, v51
	;; [unrolled: 1-line block ×3, first 2 shown]
	s_waitcnt lgkmcnt(0)
	; wave barrier
	ds_write2_b64 v154, v[47:48], v[51:52] offset1:1
	v_pk_add_f16 v48, v22, v11 neg_lo:[0,1] neg_hi:[0,1]
	v_mul_u32_u24_e32 v11, 10, v50
	v_lshlrev_b32_e32 v155, 2, v11
	v_pk_add_f16 v11, v67, v23
	v_pk_add_f16 v13, v75, v16
	v_pk_add_f16 v11, v11, v25
	v_pk_add_f16 v13, v13, v18
	v_pack_b32_f16 v51, v65, v49
	v_pack_b32_f16 v52, v58, v53
	v_pack_b32_f16 v47, v64, v54
	v_pk_add_f16 v11, v11, v27
	v_pk_add_f16 v13, v13, v20
	v_pk_add_f16 v10, v93, v10
	ds_write2_b64 v154, v[47:48], v[51:52] offset0:2 offset1:3
	v_pack_b32_f16 v48, v63, v66
	v_pack_b32_f16 v47, v61, v56
	v_pk_add_f16 v15, v11, v13
	v_pack_b32_f16 v16, v77, v82
	v_pack_b32_f16 v23, v79, v83
	;; [unrolled: 1-line block ×3, first 2 shown]
	v_pk_add_f16 v10, v10, v12
	ds_write_b64 v154, v[47:48] offset:32
	ds_write2_b64 v155, v[15:16], v[22:23] offset1:1
	v_pk_add_f16 v16, v11, v13 neg_lo:[0,1] neg_hi:[0,1]
	v_pack_b32_f16 v22, v86, v89
	v_pack_b32_f16 v23, v87, v90
	;; [unrolled: 1-line block ×3, first 2 shown]
	v_pk_add_f16 v14, v10, v14
	v_pk_add_f16 v10, v94, v17
	v_add_co_u32_e32 v41, vcc, 0x78, v142
	ds_write2_b64 v155, v[15:16], v[22:23] offset0:2 offset1:3
	v_pack_b32_f16 v16, v80, v92
	v_pack_b32_f16 v15, v88, v91
	v_pk_add_f16 v10, v10, v19
	ds_write_b64 v155, v[15:16] offset:32
	v_mul_u32_u24_e32 v11, 10, v41
	v_pk_add_f16 v15, v10, v21
	v_lshlrev_b32_e32 v156, 2, v11
	v_pk_add_f16 v10, v14, v15
	v_pack_b32_f16 v11, v95, v99
	v_pack_b32_f16 v13, v97, v101
	v_pack_b32_f16 v12, v96, v100
	v_fma_f16 v36, v71, s13, v36
	v_fma_f16 v38, v73, s12, -v38
	v_fma_f16 v43, v71, s17, v43
	v_fma_f16 v44, v72, s14, v44
	ds_write2_b64 v156, v[10:11], v[12:13] offset1:1
	v_pk_add_f16 v11, v14, v15 neg_lo:[0,1] neg_hi:[0,1]
	v_pack_b32_f16 v12, v103, v107
	v_pack_b32_f16 v13, v104, v108
	;; [unrolled: 1-line block ×3, first 2 shown]
	v_sub_f16_e32 v71, v28, v36
	v_sub_f16_e32 v72, v30, v37
	;; [unrolled: 1-line block ×8, first 2 shown]
	ds_write2_b64 v156, v[10:11], v[12:13] offset0:2 offset1:3
	v_pack_b32_f16 v11, v106, v110
	v_pack_b32_f16 v10, v105, v109
	v_mul_u32_u24_e32 v148, 10, v40
	ds_write_b64 v156, v[10:11] offset:32
	s_and_saveexec_b64 s[12:13], s[0:1]
	s_cbranch_execz .LBB0_7
; %bb.6:
	v_pk_add_f16 v2, v2, v6
	v_pk_add_f16 v0, v2, v0
	;; [unrolled: 1-line block ×7, first 2 shown]
	v_add_f16_e32 v7, v35, v45
	v_add_f16_e32 v10, v34, v44
	;; [unrolled: 1-line block ×6, first 2 shown]
	v_pk_add_f16 v5, v0, v9
	v_add_f16_e32 v6, v33, v46
	v_add_f16_e32 v12, v29, v39
	v_lshlrev_b32_e32 v16, 2, v148
	v_pk_add_f16 v0, v4, v5
	v_pack_b32_f16 v3, v13, v7
	v_pack_b32_f16 v2, v14, v10
	;; [unrolled: 1-line block ×3, first 2 shown]
	s_mov_b32 s14, 0x5040100
	ds_write2_b64 v16, v[0:1], v[2:3] offset1:1
	v_pk_add_f16 v1, v4, v5 neg_lo:[0,1] neg_hi:[0,1]
	v_perm_b32 v3, v147, v72, s14
	v_perm_b32 v2, v145, v71, s14
	v_pack_b32_f16 v0, v12, v6
	ds_write2_b64 v16, v[0:1], v[2:3] offset0:2 offset1:3
	v_perm_b32 v1, v149, v74, s14
	v_perm_b32 v0, v146, v73, s14
	ds_write_b64 v16, v[0:1] offset:32
.LBB0_7:
	s_or_b64 exec, exec, s[12:13]
	s_movk_i32 s14, 0xcd
	v_mul_lo_u16_sdwa v0, v142, s14 dst_sel:DWORD dst_unused:UNUSED_PAD src0_sel:BYTE_0 src1_sel:DWORD
	v_lshrrev_b16_e32 v26, 11, v0
	v_mul_lo_u16_e32 v0, 10, v26
	v_sub_u16_e32 v0, v142, v0
	v_and_b32_e32 v27, 0xff, v0
	v_mad_u64_u32 v[4:5], s[12:13], v27, 20, s[4:5]
	s_waitcnt lgkmcnt(0)
	; wave barrier
	s_waitcnt lgkmcnt(0)
	global_load_dwordx4 v[0:3], v[4:5], off
	v_add_u32_e32 v87, 0x400, v111
	v_add_u32_e32 v88, 0xa00, v111
	;; [unrolled: 1-line block ×8, first 2 shown]
	ds_read2_b32 v[34:35], v111 offset1:60
	ds_read2_b32 v[37:38], v87 offset0:104 offset1:164
	ds_read2_b32 v[43:44], v88 offset0:80 offset1:140
	;; [unrolled: 1-line block ×11, first 2 shown]
	global_load_dword v150, v[4:5], off offset:16
	v_mul_lo_u16_sdwa v4, v50, s14 dst_sel:DWORD dst_unused:UNUSED_PAD src0_sel:BYTE_0 src1_sel:DWORD
	v_lshrrev_b16_e32 v28, 11, v4
	v_mul_lo_u16_e32 v4, 10, v28
	v_sub_u16_e32 v4, v50, v4
	v_and_b32_e32 v29, 0xff, v4
	v_mad_u64_u32 v[8:9], s[12:13], v29, 20, s[4:5]
	v_add_u32_e32 v95, 0x200, v111
	v_add_u32_e32 v93, 0x800, v111
	global_load_dwordx4 v[4:7], v[8:9], off
	ds_read2_b32 v[24:25], v95 offset0:112 offset1:172
	ds_read2_b32 v[65:66], v93 offset0:88 offset1:148
	;; [unrolled: 1-line block ×5, first 2 shown]
	global_load_dword v151, v[8:9], off offset:16
	v_mul_lo_u16_sdwa v8, v41, s14 dst_sel:DWORD dst_unused:UNUSED_PAD src0_sel:BYTE_0 src1_sel:DWORD
	v_lshrrev_b16_e32 v30, 11, v8
	v_mul_lo_u16_e32 v8, 10, v30
	v_sub_u16_e32 v8, v41, v8
	v_and_b32_e32 v31, 0xff, v8
	v_mad_u64_u32 v[12:13], s[12:13], v31, 20, s[4:5]
	s_waitcnt lgkmcnt(14)
	v_lshrrev_b32_e32 v14, 16, v37
	v_lshrrev_b32_e32 v18, 16, v43
	global_load_dwordx4 v[8:11], v[12:13], off
	global_load_dword v152, v[12:13], off offset:16
	v_mul_lo_u16_sdwa v12, v40, s14 dst_sel:DWORD dst_unused:UNUSED_PAD src0_sel:BYTE_0 src1_sel:DWORD
	v_lshrrev_b16_e32 v32, 11, v12
	v_mul_lo_u16_e32 v12, 10, v32
	v_sub_u16_e32 v12, v40, v12
	v_and_b32_e32 v33, 0xff, v12
	v_mad_u64_u32 v[16:17], s[12:13], v33, 20, s[4:5]
	v_add_u32_e32 v36, 0xf0, v142
	s_mov_b32 s12, 0xcccd
	s_waitcnt lgkmcnt(13)
	v_lshrrev_b32_e32 v19, 16, v45
	v_add_u32_e32 v42, 0x12c, v142
	s_waitcnt lgkmcnt(12)
	v_lshrrev_b32_e32 v22, 16, v47
	s_waitcnt lgkmcnt(11)
	v_lshrrev_b32_e32 v23, 16, v51
	v_lshrrev_b32_e32 v67, 16, v38
	;; [unrolled: 1-line block ×5, first 2 shown]
	s_waitcnt lgkmcnt(9)
	v_lshrrev_b32_e32 v101, 16, v55
	v_lshrrev_b32_e32 v99, 16, v52
	s_waitcnt lgkmcnt(8)
	v_lshrrev_b32_e32 v102, 16, v57
	s_waitcnt lgkmcnt(6)
	v_lshrrev_b32_e32 v104, 16, v61
	v_lshrrev_b32_e32 v103, 16, v59
	s_waitcnt lgkmcnt(5)
	v_lshrrev_b32_e32 v105, 16, v63
	v_lshrrev_b32_e32 v108, 16, v58
	;; [unrolled: 1-line block ×3, first 2 shown]
	v_add_u32_e32 v180, 0x1e00, v111
	v_lshrrev_b32_e32 v109, 16, v60
	v_lshrrev_b32_e32 v159, 16, v64
	ds_read2_b32 v[81:82], v180 offset0:120 offset1:180
	v_lshrrev_b32_e32 v110, 16, v62
	s_waitcnt lgkmcnt(4)
	v_lshrrev_b32_e32 v161, 16, v65
	s_waitcnt lgkmcnt(2)
	v_lshrrev_b32_e32 v163, 16, v77
	v_lshrrev_b32_e32 v162, 16, v75
	s_waitcnt lgkmcnt(1)
	v_lshrrev_b32_e32 v164, 16, v79
	;; [unrolled: 3-line block ×3, first 2 shown]
	s_waitcnt vmcnt(5)
	v_mul_f16_sdwa v15, v14, v0 dst_sel:DWORD dst_unused:UNUSED_PAD src0_sel:DWORD src1_sel:WORD_1
	v_fma_f16 v172, v37, v0, -v15
	v_mul_f16_sdwa v15, v37, v0 dst_sel:DWORD dst_unused:UNUSED_PAD src0_sel:DWORD src1_sel:WORD_1
	v_mul_f16_sdwa v12, v18, v1 dst_sel:DWORD dst_unused:UNUSED_PAD src0_sel:DWORD src1_sel:WORD_1
	v_fma_f16 v37, v14, v0, v15
	v_fma_f16 v173, v43, v1, -v12
	global_load_dwordx4 v[12:15], v[16:17], off
	global_load_dword v153, v[16:17], off offset:16
	v_mul_u32_u24_sdwa v16, v36, s12 dst_sel:DWORD dst_unused:UNUSED_PAD src0_sel:WORD_0 src1_sel:DWORD
	v_lshrrev_b32_e32 v176, 19, v16
	v_mul_lo_u16_e32 v16, 10, v176
	v_sub_u16_e32 v177, v36, v16
	v_mul_f16_sdwa v20, v43, v1 dst_sel:DWORD dst_unused:UNUSED_PAD src0_sel:DWORD src1_sel:WORD_1
	v_mul_lo_u16_e32 v16, 20, v177
	v_fma_f16 v174, v18, v1, v20
	v_mul_f16_sdwa v18, v19, v2 dst_sel:DWORD dst_unused:UNUSED_PAD src0_sel:DWORD src1_sel:WORD_1
	v_mov_b32_e32 v43, s5
	v_add_co_u32_e32 v20, vcc, s4, v16
	v_fma_f16 v175, v45, v2, -v18
	v_mul_f16_sdwa v18, v45, v2 dst_sel:DWORD dst_unused:UNUSED_PAD src0_sel:DWORD src1_sel:WORD_1
	v_addc_co_u32_e32 v21, vcc, 0, v43, vcc
	v_fma_f16 v45, v19, v2, v18
	global_load_dwordx4 v[16:19], v[20:21], off
	global_load_dword v157, v[20:21], off offset:16
	v_mul_u32_u24_sdwa v20, v42, s12 dst_sel:DWORD dst_unused:UNUSED_PAD src0_sel:WORD_0 src1_sel:DWORD
	v_lshrrev_b32_e32 v182, 19, v20
	v_mul_f16_sdwa v83, v22, v3 dst_sel:DWORD dst_unused:UNUSED_PAD src0_sel:DWORD src1_sel:WORD_1
	v_mul_lo_u16_e32 v20, 10, v182
	v_fma_f16 v178, v47, v3, -v83
	v_mul_f16_sdwa v47, v47, v3 dst_sel:DWORD dst_unused:UNUSED_PAD src0_sel:DWORD src1_sel:WORD_1
	v_sub_u16_e32 v183, v42, v20
	v_fma_f16 v47, v22, v3, v47
	s_waitcnt vmcnt(8)
	v_mul_f16_sdwa v22, v23, v150 dst_sel:DWORD dst_unused:UNUSED_PAD src0_sel:DWORD src1_sel:WORD_1
	v_mul_lo_u16_e32 v20, 20, v183
	v_fma_f16 v179, v51, v150, -v22
	v_mul_f16_sdwa v22, v51, v150 dst_sel:DWORD dst_unused:UNUSED_PAD src0_sel:DWORD src1_sel:WORD_1
	v_add_co_u32_e32 v83, vcc, s4, v20
	v_fma_f16 v51, v23, v150, v22
	s_waitcnt vmcnt(7)
	v_mul_f16_sdwa v22, v67, v4 dst_sel:DWORD dst_unused:UNUSED_PAD src0_sel:DWORD src1_sel:WORD_1
	v_addc_co_u32_e32 v84, vcc, 0, v43, vcc
	v_fma_f16 v181, v38, v4, -v22
	global_load_dwordx4 v[20:23], v[83:84], off
	global_load_dword v158, v[83:84], off offset:16
	v_mul_f16_sdwa v38, v38, v4 dst_sel:DWORD dst_unused:UNUSED_PAD src0_sel:DWORD src1_sel:WORD_1
	v_fma_f16 v38, v67, v4, v38
	v_mul_f16_sdwa v67, v96, v5 dst_sel:DWORD dst_unused:UNUSED_PAD src0_sel:DWORD src1_sel:WORD_1
	v_fma_f16 v67, v44, v5, -v67
	v_mul_f16_sdwa v44, v44, v5 dst_sel:DWORD dst_unused:UNUSED_PAD src0_sel:DWORD src1_sel:WORD_1
	v_fma_f16 v44, v96, v5, v44
	v_mul_f16_sdwa v96, v97, v6 dst_sel:DWORD dst_unused:UNUSED_PAD src0_sel:DWORD src1_sel:WORD_1
	v_fma_f16 v96, v46, v6, -v96
	;; [unrolled: 4-line block ×3, first 2 shown]
	v_mul_f16_sdwa v48, v48, v7 dst_sel:DWORD dst_unused:UNUSED_PAD src0_sel:DWORD src1_sel:WORD_1
	s_waitcnt vmcnt(7)
	v_mul_f16_sdwa v84, v101, v8 dst_sel:DWORD dst_unused:UNUSED_PAD src0_sel:DWORD src1_sel:WORD_1
	v_fma_f16 v48, v98, v7, v48
	v_mul_f16_sdwa v98, v99, v151 dst_sel:DWORD dst_unused:UNUSED_PAD src0_sel:DWORD src1_sel:WORD_1
	v_fma_f16 v84, v55, v8, -v84
	v_mul_f16_sdwa v55, v55, v8 dst_sel:DWORD dst_unused:UNUSED_PAD src0_sel:DWORD src1_sel:WORD_1
	v_fma_f16 v83, v52, v151, -v98
	v_mul_f16_sdwa v52, v52, v151 dst_sel:DWORD dst_unused:UNUSED_PAD src0_sel:DWORD src1_sel:WORD_1
	v_fma_f16 v55, v101, v8, v55
	v_mul_f16_sdwa v98, v102, v9 dst_sel:DWORD dst_unused:UNUSED_PAD src0_sel:DWORD src1_sel:WORD_1
	v_mul_f16_sdwa v101, v104, v11 dst_sel:DWORD dst_unused:UNUSED_PAD src0_sel:DWORD src1_sel:WORD_1
	v_fma_f16 v52, v99, v151, v52
	v_fma_f16 v98, v57, v9, -v98
	v_mul_f16_sdwa v57, v57, v9 dst_sel:DWORD dst_unused:UNUSED_PAD src0_sel:DWORD src1_sel:WORD_1
	v_mul_f16_sdwa v99, v103, v10 dst_sel:DWORD dst_unused:UNUSED_PAD src0_sel:DWORD src1_sel:WORD_1
	v_fma_f16 v101, v61, v11, -v101
	v_mul_f16_sdwa v61, v61, v11 dst_sel:DWORD dst_unused:UNUSED_PAD src0_sel:DWORD src1_sel:WORD_1
	v_fma_f16 v57, v102, v9, v57
	v_fma_f16 v99, v59, v10, -v99
	v_mul_f16_sdwa v59, v59, v10 dst_sel:DWORD dst_unused:UNUSED_PAD src0_sel:DWORD src1_sel:WORD_1
	v_fma_f16 v61, v104, v11, v61
	s_waitcnt vmcnt(6)
	v_mul_f16_sdwa v102, v105, v152 dst_sel:DWORD dst_unused:UNUSED_PAD src0_sel:DWORD src1_sel:WORD_1
	v_fma_f16 v59, v103, v10, v59
	v_fma_f16 v102, v63, v152, -v102
	v_mul_f16_sdwa v63, v63, v152 dst_sel:DWORD dst_unused:UNUSED_PAD src0_sel:DWORD src1_sel:WORD_1
	v_fma_f16 v63, v105, v152, v63
	v_lshrrev_b32_e32 v168, 16, v76
	s_waitcnt vmcnt(5)
	v_mul_f16_sdwa v104, v108, v13 dst_sel:DWORD dst_unused:UNUSED_PAD src0_sel:DWORD src1_sel:WORD_1
	v_mul_f16_sdwa v103, v107, v12 dst_sel:DWORD dst_unused:UNUSED_PAD src0_sel:DWORD src1_sel:WORD_1
	v_fma_f16 v104, v58, v13, -v104
	v_mul_f16_sdwa v58, v58, v13 dst_sel:DWORD dst_unused:UNUSED_PAD src0_sel:DWORD src1_sel:WORD_1
	v_fma_f16 v103, v56, v12, -v103
	v_mul_f16_sdwa v56, v56, v12 dst_sel:DWORD dst_unused:UNUSED_PAD src0_sel:DWORD src1_sel:WORD_1
	v_fma_f16 v58, v108, v13, v58
	v_mul_f16_sdwa v105, v109, v14 dst_sel:DWORD dst_unused:UNUSED_PAD src0_sel:DWORD src1_sel:WORD_1
	s_waitcnt vmcnt(4)
	v_mul_f16_sdwa v108, v159, v153 dst_sel:DWORD dst_unused:UNUSED_PAD src0_sel:DWORD src1_sel:WORD_1
	v_fma_f16 v56, v107, v12, v56
	v_fma_f16 v105, v60, v14, -v105
	v_mul_f16_sdwa v60, v60, v14 dst_sel:DWORD dst_unused:UNUSED_PAD src0_sel:DWORD src1_sel:WORD_1
	v_mul_f16_sdwa v107, v110, v15 dst_sel:DWORD dst_unused:UNUSED_PAD src0_sel:DWORD src1_sel:WORD_1
	v_fma_f16 v108, v64, v153, -v108
	v_mul_f16_sdwa v64, v64, v153 dst_sel:DWORD dst_unused:UNUSED_PAD src0_sel:DWORD src1_sel:WORD_1
	v_fma_f16 v60, v109, v14, v60
	v_fma_f16 v107, v62, v15, -v107
	v_mul_f16_sdwa v62, v62, v15 dst_sel:DWORD dst_unused:UNUSED_PAD src0_sel:DWORD src1_sel:WORD_1
	v_fma_f16 v64, v159, v153, v64
	s_waitcnt vmcnt(3)
	v_mul_f16_sdwa v109, v161, v16 dst_sel:DWORD dst_unused:UNUSED_PAD src0_sel:DWORD src1_sel:WORD_1
	v_mul_f16_sdwa v159, v163, v18 dst_sel:DWORD dst_unused:UNUSED_PAD src0_sel:DWORD src1_sel:WORD_1
	v_fma_f16 v62, v110, v15, v62
	v_fma_f16 v109, v65, v16, -v109
	v_mul_f16_sdwa v65, v65, v16 dst_sel:DWORD dst_unused:UNUSED_PAD src0_sel:DWORD src1_sel:WORD_1
	v_mul_f16_sdwa v110, v162, v17 dst_sel:DWORD dst_unused:UNUSED_PAD src0_sel:DWORD src1_sel:WORD_1
	v_fma_f16 v159, v77, v18, -v159
	v_mul_f16_sdwa v77, v77, v18 dst_sel:DWORD dst_unused:UNUSED_PAD src0_sel:DWORD src1_sel:WORD_1
	v_fma_f16 v65, v161, v16, v65
	v_fma_f16 v110, v75, v17, -v110
	v_mul_f16_sdwa v75, v75, v17 dst_sel:DWORD dst_unused:UNUSED_PAD src0_sel:DWORD src1_sel:WORD_1
	v_fma_f16 v77, v163, v18, v77
	v_mul_f16_sdwa v161, v164, v19 dst_sel:DWORD dst_unused:UNUSED_PAD src0_sel:DWORD src1_sel:WORD_1
	v_lshrrev_b32_e32 v170, 16, v80
	v_fma_f16 v75, v162, v17, v75
	v_fma_f16 v161, v79, v19, -v161
	v_mul_f16_sdwa v79, v79, v19 dst_sel:DWORD dst_unused:UNUSED_PAD src0_sel:DWORD src1_sel:WORD_1
	s_waitcnt vmcnt(2)
	v_mul_f16_sdwa v162, v165, v157 dst_sel:DWORD dst_unused:UNUSED_PAD src0_sel:DWORD src1_sel:WORD_1
	v_lshrrev_b32_e32 v169, 16, v78
	v_fma_f16 v79, v164, v19, v79
	s_waitcnt vmcnt(1)
	v_mul_f16_sdwa v163, v167, v20 dst_sel:DWORD dst_unused:UNUSED_PAD src0_sel:DWORD src1_sel:WORD_1
	v_fma_f16 v163, v66, v20, -v163
	v_mul_f16_sdwa v66, v66, v20 dst_sel:DWORD dst_unused:UNUSED_PAD src0_sel:DWORD src1_sel:WORD_1
	v_fma_f16 v162, v81, v157, -v162
	v_mul_f16_sdwa v81, v81, v157 dst_sel:DWORD dst_unused:UNUSED_PAD src0_sel:DWORD src1_sel:WORD_1
	v_fma_f16 v66, v167, v20, v66
	v_mul_f16_sdwa v164, v168, v21 dst_sel:DWORD dst_unused:UNUSED_PAD src0_sel:DWORD src1_sel:WORD_1
	v_mul_f16_sdwa v167, v170, v23 dst_sel:DWORD dst_unused:UNUSED_PAD src0_sel:DWORD src1_sel:WORD_1
	v_lshrrev_b32_e32 v171, 16, v82
	v_fma_f16 v81, v165, v157, v81
	v_fma_f16 v164, v76, v21, -v164
	v_mul_f16_sdwa v76, v76, v21 dst_sel:DWORD dst_unused:UNUSED_PAD src0_sel:DWORD src1_sel:WORD_1
	v_mul_f16_sdwa v165, v169, v22 dst_sel:DWORD dst_unused:UNUSED_PAD src0_sel:DWORD src1_sel:WORD_1
	v_fma_f16 v167, v80, v23, -v167
	v_mul_f16_sdwa v80, v80, v23 dst_sel:DWORD dst_unused:UNUSED_PAD src0_sel:DWORD src1_sel:WORD_1
	v_fma_f16 v76, v168, v21, v76
	v_fma_f16 v165, v78, v22, -v165
	v_mul_f16_sdwa v78, v78, v22 dst_sel:DWORD dst_unused:UNUSED_PAD src0_sel:DWORD src1_sel:WORD_1
	v_fma_f16 v80, v170, v23, v80
	s_waitcnt vmcnt(0)
	v_mul_f16_sdwa v168, v171, v158 dst_sel:DWORD dst_unused:UNUSED_PAD src0_sel:DWORD src1_sel:WORD_1
	v_add_f16_e32 v170, v173, v178
	v_lshrrev_b32_e32 v39, 16, v34
	v_fma_f16 v78, v169, v22, v78
	v_fma_f16 v168, v82, v158, -v168
	v_mul_f16_sdwa v82, v82, v158 dst_sel:DWORD dst_unused:UNUSED_PAD src0_sel:DWORD src1_sel:WORD_1
	v_add_f16_e32 v169, v34, v173
	v_fma_f16 v34, v170, -0.5, v34
	v_sub_f16_e32 v170, v174, v47
	s_movk_i32 s13, 0x3aee
	s_mov_b32 s12, 0xbaee
	v_fma_f16 v82, v171, v158, v82
	v_fma_f16 v171, v170, s13, v34
	;; [unrolled: 1-line block ×3, first 2 shown]
	v_add_f16_e32 v170, v39, v174
	v_add_f16_e32 v170, v170, v47
	;; [unrolled: 1-line block ×3, first 2 shown]
	v_fma_f16 v39, v47, -0.5, v39
	v_sub_f16_e32 v47, v173, v178
	v_add_f16_e32 v174, v175, v179
	v_fma_f16 v173, v47, s12, v39
	v_fma_f16 v39, v47, s13, v39
	v_add_f16_e32 v47, v172, v175
	v_fma_f16 v172, v174, -0.5, v172
	v_sub_f16_e32 v174, v45, v51
	v_add_f16_e32 v169, v169, v178
	v_fma_f16 v178, v174, s13, v172
	v_fma_f16 v172, v174, s12, v172
	v_add_f16_e32 v174, v37, v45
	v_add_f16_e32 v45, v45, v51
	v_fma_f16 v37, v45, -0.5, v37
	v_sub_f16_e32 v45, v175, v179
	v_add_f16_e32 v174, v174, v51
	v_fma_f16 v51, v45, s12, v37
	v_fma_f16 v37, v45, s13, v37
	v_mul_f16_e32 v175, 0x3aee, v51
	v_mul_f16_e32 v184, -0.5, v172
	v_add_f16_e32 v47, v47, v179
	v_fma_f16 v175, v178, 0.5, v175
	v_fma_f16 v184, v37, s13, v184
	v_mul_f16_e32 v37, -0.5, v37
	v_add_f16_e32 v45, v169, v47
	v_add_f16_e32 v179, v171, v175
	v_mul_f16_e32 v178, 0xbaee, v178
	v_fma_f16 v37, v172, s12, v37
	v_sub_f16_e32 v47, v169, v47
	v_sub_f16_e32 v169, v171, v175
	v_add_f16_e32 v171, v67, v97
	v_lshrrev_b32_e32 v49, 16, v35
	v_fma_f16 v51, v51, 0.5, v178
	v_add_f16_e32 v172, v39, v37
	v_sub_f16_e32 v37, v39, v37
	v_add_f16_e32 v39, v35, v67
	v_fma_f16 v35, v171, -0.5, v35
	v_sub_f16_e32 v171, v44, v48
	v_add_f16_e32 v178, v173, v51
	v_sub_f16_e32 v51, v173, v51
	v_fma_f16 v173, v171, s13, v35
	v_fma_f16 v35, v171, s12, v35
	v_add_f16_e32 v171, v49, v44
	v_add_f16_e32 v171, v171, v48
	;; [unrolled: 1-line block ×3, first 2 shown]
	v_sub_f16_e32 v48, v67, v97
	v_add_f16_e32 v67, v96, v83
	v_add_f16_e32 v39, v39, v97
	v_fma_f16 v67, v67, -0.5, v181
	v_sub_f16_e32 v97, v46, v52
	v_add_f16_e32 v186, v170, v174
	v_sub_f16_e32 v170, v170, v174
	v_fma_f16 v174, v97, s13, v67
	v_fma_f16 v67, v97, s12, v67
	v_add_f16_e32 v97, v38, v46
	v_add_f16_e32 v46, v46, v52
	v_fma_f16 v44, v44, -0.5, v49
	v_fma_f16 v38, v46, -0.5, v38
	v_sub_f16_e32 v46, v96, v83
	v_fma_f16 v49, v48, s12, v44
	v_fma_f16 v44, v48, s13, v44
	v_add_f16_e32 v48, v181, v96
	v_add_f16_e32 v97, v97, v52
	v_fma_f16 v52, v46, s12, v38
	v_add_f16_e32 v48, v48, v83
	v_mul_f16_e32 v83, 0x3aee, v52
	v_fma_f16 v38, v46, s13, v38
	v_fma_f16 v83, v174, 0.5, v83
	v_mul_f16_e32 v175, -0.5, v67
	v_mul_f16_e32 v174, 0xbaee, v174
	v_fma_f16 v175, v38, s13, v175
	v_fma_f16 v52, v52, 0.5, v174
	v_mul_f16_e32 v38, -0.5, v38
	v_add_f16_e32 v174, v49, v52
	v_fma_f16 v38, v67, s12, v38
	v_sub_f16_e32 v49, v49, v52
	v_add_f16_e32 v52, v98, v101
	v_lshrrev_b32_e32 v100, 16, v53
	v_add_f16_e32 v67, v44, v38
	v_sub_f16_e32 v38, v44, v38
	v_add_f16_e32 v44, v53, v98
	v_fma_f16 v52, v52, -0.5, v53
	v_sub_f16_e32 v53, v57, v61
	v_add_f16_e32 v185, v34, v184
	v_sub_f16_e32 v34, v34, v184
	v_add_f16_e32 v46, v39, v48
	v_add_f16_e32 v96, v173, v83
	;; [unrolled: 1-line block ×3, first 2 shown]
	v_sub_f16_e32 v39, v39, v48
	v_sub_f16_e32 v48, v173, v83
	;; [unrolled: 1-line block ×3, first 2 shown]
	v_fma_f16 v97, v53, s13, v52
	v_fma_f16 v52, v53, s12, v52
	v_add_f16_e32 v53, v100, v57
	v_add_f16_e32 v57, v57, v61
	;; [unrolled: 1-line block ×3, first 2 shown]
	v_fma_f16 v57, v57, -0.5, v100
	v_sub_f16_e32 v61, v98, v101
	v_add_f16_e32 v100, v99, v102
	v_fma_f16 v98, v61, s12, v57
	v_fma_f16 v57, v61, s13, v57
	v_add_f16_e32 v61, v84, v99
	v_fma_f16 v84, v100, -0.5, v84
	v_sub_f16_e32 v100, v59, v63
	v_add_f16_e32 v44, v44, v101
	v_fma_f16 v101, v100, s13, v84
	v_fma_f16 v84, v100, s12, v84
	v_add_f16_e32 v100, v55, v59
	v_add_f16_e32 v59, v59, v63
	v_fma_f16 v55, v59, -0.5, v55
	v_sub_f16_e32 v59, v99, v102
	v_add_f16_e32 v100, v100, v63
	v_fma_f16 v63, v59, s12, v55
	v_fma_f16 v55, v59, s13, v55
	v_mul_f16_e32 v99, 0x3aee, v63
	v_mul_f16_e32 v171, -0.5, v84
	v_add_f16_e32 v61, v61, v102
	v_fma_f16 v99, v101, 0.5, v99
	v_fma_f16 v171, v55, s13, v171
	v_mul_f16_e32 v55, -0.5, v55
	v_add_f16_e32 v59, v44, v61
	v_add_f16_e32 v102, v97, v99
	v_mul_f16_e32 v101, 0xbaee, v101
	v_fma_f16 v55, v84, s12, v55
	v_sub_f16_e32 v44, v44, v61
	v_sub_f16_e32 v61, v97, v99
	v_add_f16_e32 v97, v104, v107
	v_lshrrev_b32_e32 v106, 16, v54
	v_fma_f16 v63, v63, 0.5, v101
	v_add_f16_e32 v84, v57, v55
	v_sub_f16_e32 v55, v57, v55
	v_add_f16_e32 v57, v54, v104
	v_fma_f16 v54, v97, -0.5, v54
	v_sub_f16_e32 v97, v58, v62
	v_add_f16_e32 v101, v98, v63
	v_sub_f16_e32 v63, v98, v63
	v_fma_f16 v98, v97, s13, v54
	v_fma_f16 v54, v97, s12, v54
	v_add_f16_e32 v97, v106, v58
	v_add_f16_e32 v58, v58, v62
	;; [unrolled: 1-line block ×3, first 2 shown]
	v_sub_f16_e32 v35, v35, v175
	v_add_f16_e32 v175, v53, v100
	v_sub_f16_e32 v53, v53, v100
	v_add_f16_e32 v97, v97, v62
	v_fma_f16 v58, v58, -0.5, v106
	v_sub_f16_e32 v62, v104, v107
	v_add_f16_e32 v100, v105, v108
	v_fma_f16 v99, v62, s12, v58
	v_fma_f16 v58, v62, s13, v58
	v_add_f16_e32 v62, v103, v105
	v_fma_f16 v100, v100, -0.5, v103
	v_sub_f16_e32 v103, v60, v64
	v_fma_f16 v104, v103, s13, v100
	v_fma_f16 v100, v103, s12, v100
	v_add_f16_e32 v103, v56, v60
	v_add_f16_e32 v60, v60, v64
	v_fma_f16 v56, v60, -0.5, v56
	v_sub_f16_e32 v60, v105, v108
	v_add_f16_e32 v103, v103, v64
	v_fma_f16 v64, v60, s12, v56
	v_add_f16_e32 v57, v57, v107
	v_fma_f16 v56, v60, s13, v56
	v_mul_f16_e32 v105, 0x3aee, v64
	v_mul_f16_e32 v107, -0.5, v100
	v_add_f16_e32 v62, v62, v108
	v_fma_f16 v105, v104, 0.5, v105
	v_fma_f16 v107, v56, s13, v107
	v_mul_f16_e32 v56, -0.5, v56
	v_add_f16_e32 v60, v57, v62
	v_add_f16_e32 v106, v98, v105
	v_mul_f16_e32 v104, 0xbaee, v104
	v_fma_f16 v56, v100, s12, v56
	v_sub_f16_e32 v57, v57, v62
	v_sub_f16_e32 v62, v98, v105
	v_add_f16_e32 v98, v110, v161
	v_lshrrev_b32_e32 v160, 16, v24
	v_fma_f16 v64, v64, 0.5, v104
	v_add_f16_e32 v100, v58, v56
	v_sub_f16_e32 v56, v58, v56
	v_add_f16_e32 v58, v24, v110
	v_fma_f16 v24, v98, -0.5, v24
	v_sub_f16_e32 v98, v75, v79
	v_add_f16_e32 v104, v99, v64
	v_sub_f16_e32 v64, v99, v64
	v_fma_f16 v99, v98, s13, v24
	v_fma_f16 v24, v98, s12, v24
	v_add_f16_e32 v98, v160, v75
	v_add_f16_e32 v75, v75, v79
	;; [unrolled: 1-line block ×4, first 2 shown]
	v_sub_f16_e32 v54, v54, v107
	v_add_f16_e32 v98, v98, v79
	v_fma_f16 v75, v75, -0.5, v160
	v_sub_f16_e32 v79, v110, v161
	v_fma_f16 v105, v105, -0.5, v109
	v_sub_f16_e32 v107, v77, v81
	v_add_f16_e32 v173, v52, v171
	v_sub_f16_e32 v52, v52, v171
	v_add_f16_e32 v171, v97, v103
	v_sub_f16_e32 v97, v97, v103
	v_fma_f16 v103, v79, s12, v75
	v_fma_f16 v75, v79, s13, v75
	v_add_f16_e32 v79, v109, v159
	v_fma_f16 v109, v107, s13, v105
	v_fma_f16 v105, v107, s12, v105
	v_add_f16_e32 v107, v65, v77
	v_add_f16_e32 v77, v77, v81
	v_fma_f16 v65, v77, -0.5, v65
	v_sub_f16_e32 v77, v159, v162
	v_add_f16_e32 v107, v107, v81
	v_fma_f16 v81, v77, s12, v65
	v_fma_f16 v65, v77, s13, v65
	v_mul_f16_e32 v110, 0x3aee, v81
	v_mul_f16_e32 v159, -0.5, v105
	v_add_f16_e32 v58, v58, v161
	v_add_f16_e32 v79, v79, v162
	v_fma_f16 v110, v109, 0.5, v110
	v_fma_f16 v159, v65, s13, v159
	v_mul_f16_e32 v65, -0.5, v65
	v_add_f16_e32 v77, v58, v79
	v_add_f16_e32 v161, v99, v110
	v_mul_f16_e32 v109, 0xbaee, v109
	v_fma_f16 v65, v105, s12, v65
	v_sub_f16_e32 v58, v58, v79
	v_sub_f16_e32 v79, v99, v110
	v_add_f16_e32 v99, v164, v167
	v_lshrrev_b32_e32 v166, 16, v25
	v_fma_f16 v81, v81, 0.5, v109
	v_add_f16_e32 v105, v75, v65
	v_sub_f16_e32 v65, v75, v65
	v_add_f16_e32 v75, v25, v164
	v_fma_f16 v25, v99, -0.5, v25
	v_sub_f16_e32 v99, v76, v80
	v_add_f16_e32 v110, v165, v168
	v_add_f16_e32 v187, v24, v159
	;; [unrolled: 1-line block ×3, first 2 shown]
	v_sub_f16_e32 v24, v24, v159
	v_sub_f16_e32 v81, v103, v81
	v_fma_f16 v103, v99, s13, v25
	v_fma_f16 v25, v99, s12, v25
	v_add_f16_e32 v99, v166, v76
	v_add_f16_e32 v76, v76, v80
	v_fma_f16 v110, v110, -0.5, v163
	v_sub_f16_e32 v159, v78, v82
	v_add_f16_e32 v99, v99, v80
	v_fma_f16 v76, v76, -0.5, v166
	v_sub_f16_e32 v80, v164, v167
	v_fma_f16 v160, v159, s13, v110
	v_fma_f16 v110, v159, s12, v110
	v_add_f16_e32 v159, v66, v78
	v_add_f16_e32 v188, v98, v107
	v_sub_f16_e32 v98, v98, v107
	v_fma_f16 v107, v80, s12, v76
	v_fma_f16 v76, v80, s13, v76
	v_add_f16_e32 v80, v163, v165
	v_add_f16_e32 v159, v159, v82
	;; [unrolled: 1-line block ×3, first 2 shown]
	v_mul_u32_u24_e32 v26, 60, v26
	v_add_f16_e32 v80, v80, v168
	v_fma_f16 v66, v78, -0.5, v66
	v_sub_f16_e32 v78, v165, v168
	v_add_f16_e32 v168, v99, v159
	v_sub_f16_e32 v99, v99, v159
	v_add_lshl_u32 v159, v26, v27, 2
	v_pack_b32_f16 v26, v45, v186
	v_pack_b32_f16 v27, v179, v178
	v_fma_f16 v82, v78, s12, v66
	s_waitcnt lgkmcnt(0)
	; wave barrier
	ds_write2_b32 v159, v26, v27 offset1:10
	v_pack_b32_f16 v26, v185, v172
	v_pack_b32_f16 v27, v47, v170
	v_mul_f16_e32 v162, 0x3aee, v82
	ds_write2_b32 v159, v26, v27 offset0:20 offset1:30
	v_pack_b32_f16 v26, v169, v51
	v_pack_b32_f16 v27, v34, v37
	v_fma_f16 v162, v160, 0.5, v162
	v_mul_f16_e32 v160, 0xbaee, v160
	ds_write2_b32 v159, v26, v27 offset0:40 offset1:50
	v_mul_u32_u24_e32 v26, 60, v28
	v_fma_f16 v82, v82, 0.5, v160
	v_add_lshl_u32 v160, v26, v29, 2
	v_pack_b32_f16 v26, v46, v184
	v_pack_b32_f16 v27, v96, v174
	ds_write2_b32 v160, v26, v27 offset1:10
	v_pack_b32_f16 v26, v181, v67
	v_pack_b32_f16 v27, v39, v83
	ds_write2_b32 v160, v26, v27 offset0:20 offset1:30
	v_pack_b32_f16 v26, v48, v49
	v_pack_b32_f16 v27, v35, v38
	v_add_f16_e32 v75, v75, v167
	ds_write2_b32 v160, v26, v27 offset0:40 offset1:50
	v_mul_u32_u24_e32 v26, 60, v30
	v_fma_f16 v66, v78, s13, v66
	v_add_f16_e32 v78, v75, v80
	v_add_f16_e32 v166, v103, v162
	v_sub_f16_e32 v75, v75, v80
	v_sub_f16_e32 v80, v103, v162
	v_add_lshl_u32 v162, v26, v31, 2
	v_pack_b32_f16 v26, v59, v175
	v_pack_b32_f16 v27, v102, v101
	ds_write2_b32 v162, v26, v27 offset1:10
	v_pack_b32_f16 v26, v173, v84
	v_pack_b32_f16 v27, v44, v53
	v_mul_f16_e32 v163, -0.5, v110
	ds_write2_b32 v162, v26, v27 offset0:20 offset1:30
	v_pack_b32_f16 v26, v61, v63
	v_pack_b32_f16 v27, v52, v55
	v_fma_f16 v163, v66, s13, v163
	ds_write2_b32 v162, v26, v27 offset0:40 offset1:50
	v_mul_u32_u24_e32 v26, 60, v32
	v_add_f16_e32 v167, v25, v163
	v_sub_f16_e32 v25, v25, v163
	v_add_lshl_u32 v163, v26, v33, 2
	v_pack_b32_f16 v26, v60, v171
	v_pack_b32_f16 v27, v106, v104
	ds_write2_b32 v163, v26, v27 offset1:10
	v_pack_b32_f16 v26, v108, v100
	v_pack_b32_f16 v27, v57, v97
	ds_write2_b32 v163, v26, v27 offset0:20 offset1:30
	v_pack_b32_f16 v26, v62, v64
	v_pack_b32_f16 v27, v54, v56
	ds_write2_b32 v163, v26, v27 offset0:40 offset1:50
	v_mad_legacy_u16 v26, v176, 60, v177
	v_lshlrev_b32_e32 v164, 2, v26
	v_pack_b32_f16 v26, v77, v188
	v_pack_b32_f16 v27, v161, v109
	ds_write2_b32 v164, v26, v27 offset1:10
	v_pack_b32_f16 v26, v187, v105
	v_pack_b32_f16 v27, v58, v98
	v_mul_f16_e32 v66, -0.5, v66
	ds_write2_b32 v164, v26, v27 offset0:20 offset1:30
	v_pack_b32_f16 v26, v79, v81
	v_pack_b32_f16 v24, v24, v65
	v_add_f16_e32 v189, v107, v82
	v_fma_f16 v66, v110, s12, v66
	ds_write2_b32 v164, v26, v24 offset0:40 offset1:50
	v_mad_legacy_u16 v24, v182, 60, v183
	v_mad_u64_u32 v[48:49], s[14:15], v142, 20, s[4:5]
	v_add_f16_e32 v110, v76, v66
	v_lshlrev_b32_e32 v165, 2, v24
	v_pack_b32_f16 v24, v78, v168
	v_pack_b32_f16 v26, v166, v189
	v_sub_f16_e32 v82, v107, v82
	v_sub_f16_e32 v66, v76, v66
	ds_write2_b32 v165, v24, v26 offset1:10
	v_pack_b32_f16 v24, v167, v110
	v_pack_b32_f16 v26, v75, v99
	ds_write2_b32 v165, v24, v26 offset0:20 offset1:30
	v_pack_b32_f16 v24, v80, v82
	v_pack_b32_f16 v25, v25, v66
	ds_write2_b32 v165, v24, v25 offset0:40 offset1:50
	s_waitcnt lgkmcnt(0)
	; wave barrier
	s_waitcnt lgkmcnt(0)
	global_load_dwordx4 v[24:27], v[48:49], off offset:200
	ds_read2_b32 v[51:52], v111 offset1:60
	ds_read2_b32 v[53:54], v87 offset0:104 offset1:164
	ds_read2_b32 v[55:56], v88 offset0:80 offset1:140
	;; [unrolled: 1-line block ×5, first 2 shown]
	global_load_dword v161, v[48:49], off offset:216
	s_movk_i32 s16, 0x89
	v_mul_lo_u16_sdwa v28, v41, s16 dst_sel:DWORD dst_unused:UNUSED_PAD src0_sel:BYTE_0 src1_sel:DWORD
	v_lshrrev_b16_e32 v28, 13, v28
	v_mul_lo_u16_e32 v28, 60, v28
	v_sub_u16_e32 v28, v41, v28
	v_and_b32_e32 v46, 0xff, v28
	v_mad_u64_u32 v[32:33], s[14:15], v46, 20, s[4:5]
	ds_read2_b32 v[63:64], v111 offset0:120 offset1:180
	ds_read2_b32 v[65:66], v94 offset0:96 offset1:156
	;; [unrolled: 1-line block ×12, first 2 shown]
	global_load_dwordx4 v[28:31], v[32:33], off offset:200
	global_load_dword v166, v[32:33], off offset:216
	v_mul_lo_u16_sdwa v32, v40, s16 dst_sel:DWORD dst_unused:UNUSED_PAD src0_sel:BYTE_0 src1_sel:DWORD
	v_lshrrev_b16_e32 v32, 13, v32
	v_mul_lo_u16_e32 v32, 60, v32
	v_sub_u16_e32 v32, v40, v32
	v_and_b32_e32 v47, 0xff, v32
	v_mad_u64_u32 v[37:38], s[14:15], v47, 20, s[4:5]
	s_waitcnt lgkmcnt(14)
	v_lshrrev_b32_e32 v34, 16, v53
	s_mov_b32 s14, 0x8889
	global_load_dword v167, v[37:38], off offset:216
	v_lshrrev_b32_e32 v39, 16, v55
	v_lshrrev_b32_e32 v104, 16, v57
	s_waitcnt lgkmcnt(13)
	v_lshrrev_b32_e32 v105, 16, v59
	s_waitcnt lgkmcnt(12)
	v_lshrrev_b32_e32 v106, 16, v61
	v_lshrrev_b32_e32 v108, 16, v54
	v_lshrrev_b32_e32 v109, 16, v56
	v_lshrrev_b32_e32 v110, 16, v58
	v_lshrrev_b32_e32 v169, 16, v60
	v_lshrrev_b32_e32 v170, 16, v62
	s_waitcnt lgkmcnt(9)
	v_lshrrev_b32_e32 v173, 16, v75
	v_lshrrev_b32_e32 v172, 16, v65
	s_waitcnt lgkmcnt(7)
	v_lshrrev_b32_e32 v175, 16, v79
	v_lshrrev_b32_e32 v174, 16, v77
	;; [unrolled: 1-line block ×3, first 2 shown]
	s_waitcnt lgkmcnt(6)
	v_lshrrev_b32_e32 v176, 16, v81
	v_lshrrev_b32_e32 v181, 16, v78
	;; [unrolled: 1-line block ×5, first 2 shown]
	s_waitcnt lgkmcnt(3)
	v_lshrrev_b32_e32 v186, 16, v96
	v_lshrrev_b32_e32 v185, 16, v83
	s_waitcnt lgkmcnt(1)
	v_lshrrev_b32_e32 v188, 16, v100
	v_lshrrev_b32_e32 v187, 16, v98
	v_lshrrev_b32_e32 v191, 16, v84
	s_waitcnt lgkmcnt(0)
	v_lshrrev_b32_e32 v189, 16, v102
	v_lshrrev_b32_e32 v193, 16, v99
	;; [unrolled: 1-line block ×11, first 2 shown]
	s_add_u32 s2, s2, 0x21c0
	s_addc_u32 s3, s3, 0
	s_waitcnt vmcnt(4)
	v_mul_f16_sdwa v35, v34, v24 dst_sel:DWORD dst_unused:UNUSED_PAD src0_sel:DWORD src1_sel:WORD_1
	v_mul_f16_sdwa v32, v53, v24 dst_sel:DWORD dst_unused:UNUSED_PAD src0_sel:DWORD src1_sel:WORD_1
	v_fma_f16 v196, v53, v24, -v35
	v_fma_f16 v53, v34, v24, v32
	global_load_dwordx4 v[32:35], v[37:38], off offset:200
	v_mul_u32_u24_sdwa v37, v36, s14 dst_sel:DWORD dst_unused:UNUSED_PAD src0_sel:WORD_0 src1_sel:DWORD
	v_lshrrev_b32_e32 v37, 21, v37
	v_mul_lo_u16_e32 v37, 60, v37
	v_mul_f16_sdwa v40, v39, v25 dst_sel:DWORD dst_unused:UNUSED_PAD src0_sel:DWORD src1_sel:WORD_1
	v_sub_u16_e32 v199, v36, v37
	v_fma_f16 v197, v55, v25, -v40
	v_mul_f16_sdwa v40, v55, v25 dst_sel:DWORD dst_unused:UNUSED_PAD src0_sel:DWORD src1_sel:WORD_1
	v_mul_lo_u16_e32 v36, 20, v199
	v_fma_f16 v55, v39, v25, v40
	v_mul_f16_sdwa v39, v104, v26 dst_sel:DWORD dst_unused:UNUSED_PAD src0_sel:DWORD src1_sel:WORD_1
	v_add_co_u32_e32 v40, vcc, s4, v36
	v_fma_f16 v198, v57, v26, -v39
	v_mul_f16_sdwa v39, v57, v26 dst_sel:DWORD dst_unused:UNUSED_PAD src0_sel:DWORD src1_sel:WORD_1
	v_addc_co_u32_e32 v41, vcc, 0, v43, vcc
	v_fma_f16 v57, v104, v26, v39
	global_load_dwordx4 v[36:39], v[40:41], off offset:200
	global_load_dword v168, v[40:41], off offset:216
	v_mul_u32_u24_sdwa v40, v42, s14 dst_sel:DWORD dst_unused:UNUSED_PAD src0_sel:WORD_0 src1_sel:DWORD
	v_mul_f16_sdwa v104, v105, v27 dst_sel:DWORD dst_unused:UNUSED_PAD src0_sel:DWORD src1_sel:WORD_1
	v_lshrrev_b32_e32 v40, 21, v40
	v_fma_f16 v200, v59, v27, -v104
	s_waitcnt vmcnt(6)
	v_mul_f16_sdwa v104, v106, v161 dst_sel:DWORD dst_unused:UNUSED_PAD src0_sel:DWORD src1_sel:WORD_1
	v_mul_lo_u16_e32 v40, 60, v40
	v_fma_f16 v201, v61, v161, -v104
	v_mul_f16_sdwa v61, v61, v161 dst_sel:DWORD dst_unused:UNUSED_PAD src0_sel:DWORD src1_sel:WORD_1
	v_mul_f16_sdwa v104, v108, v24 dst_sel:DWORD dst_unused:UNUSED_PAD src0_sel:DWORD src1_sel:WORD_1
	v_sub_u16_e32 v202, v42, v40
	v_fma_f16 v61, v106, v161, v61
	v_fma_f16 v106, v54, v24, -v104
	v_mul_lo_u16_e32 v40, 20, v202
	v_mul_f16_sdwa v54, v54, v24 dst_sel:DWORD dst_unused:UNUSED_PAD src0_sel:DWORD src1_sel:WORD_1
	v_mul_f16_sdwa v59, v59, v27 dst_sel:DWORD dst_unused:UNUSED_PAD src0_sel:DWORD src1_sel:WORD_1
	v_add_co_u32_e32 v104, vcc, s4, v40
	v_fma_f16 v54, v108, v24, v54
	v_mul_f16_sdwa v108, v109, v25 dst_sel:DWORD dst_unused:UNUSED_PAD src0_sel:DWORD src1_sel:WORD_1
	v_fma_f16 v59, v105, v27, v59
	v_addc_co_u32_e32 v105, vcc, 0, v43, vcc
	v_fma_f16 v108, v56, v25, -v108
	v_mul_f16_sdwa v56, v56, v25 dst_sel:DWORD dst_unused:UNUSED_PAD src0_sel:DWORD src1_sel:WORD_1
	global_load_dwordx4 v[40:43], v[104:105], off offset:200
	v_fma_f16 v56, v109, v25, v56
	v_mul_f16_sdwa v109, v110, v26 dst_sel:DWORD dst_unused:UNUSED_PAD src0_sel:DWORD src1_sel:WORD_1
	v_fma_f16 v109, v58, v26, -v109
	v_mul_f16_sdwa v58, v58, v26 dst_sel:DWORD dst_unused:UNUSED_PAD src0_sel:DWORD src1_sel:WORD_1
	v_fma_f16 v58, v110, v26, v58
	v_mul_f16_sdwa v110, v169, v27 dst_sel:DWORD dst_unused:UNUSED_PAD src0_sel:DWORD src1_sel:WORD_1
	v_fma_f16 v110, v60, v27, -v110
	v_mul_f16_sdwa v60, v60, v27 dst_sel:DWORD dst_unused:UNUSED_PAD src0_sel:DWORD src1_sel:WORD_1
	v_fma_f16 v60, v169, v27, v60
	global_load_dword v169, v[104:105], off offset:216
	v_mul_f16_sdwa v203, v170, v161 dst_sel:DWORD dst_unused:UNUSED_PAD src0_sel:DWORD src1_sel:WORD_1
	v_fma_f16 v104, v62, v161, -v203
	v_mul_f16_sdwa v62, v62, v161 dst_sel:DWORD dst_unused:UNUSED_PAD src0_sel:DWORD src1_sel:WORD_1
	v_fma_f16 v62, v170, v161, v62
	s_waitcnt vmcnt(7)
	v_mul_f16_sdwa v170, v173, v29 dst_sel:DWORD dst_unused:UNUSED_PAD src0_sel:DWORD src1_sel:WORD_1
	v_mul_f16_sdwa v105, v172, v28 dst_sel:DWORD dst_unused:UNUSED_PAD src0_sel:DWORD src1_sel:WORD_1
	v_fma_f16 v170, v75, v29, -v170
	v_mul_f16_sdwa v75, v75, v29 dst_sel:DWORD dst_unused:UNUSED_PAD src0_sel:DWORD src1_sel:WORD_1
	v_fma_f16 v105, v65, v28, -v105
	v_mul_f16_sdwa v65, v65, v28 dst_sel:DWORD dst_unused:UNUSED_PAD src0_sel:DWORD src1_sel:WORD_1
	v_fma_f16 v75, v173, v29, v75
	v_mul_f16_sdwa v173, v175, v31 dst_sel:DWORD dst_unused:UNUSED_PAD src0_sel:DWORD src1_sel:WORD_1
	v_fma_f16 v65, v172, v28, v65
	v_mul_f16_sdwa v172, v174, v30 dst_sel:DWORD dst_unused:UNUSED_PAD src0_sel:DWORD src1_sel:WORD_1
	v_fma_f16 v173, v79, v31, -v173
	v_mul_f16_sdwa v79, v79, v31 dst_sel:DWORD dst_unused:UNUSED_PAD src0_sel:DWORD src1_sel:WORD_1
	v_fma_f16 v172, v77, v30, -v172
	v_mul_f16_sdwa v77, v77, v30 dst_sel:DWORD dst_unused:UNUSED_PAD src0_sel:DWORD src1_sel:WORD_1
	v_fma_f16 v79, v175, v31, v79
	v_fma_f16 v77, v174, v30, v77
	s_waitcnt vmcnt(6)
	v_mul_f16_sdwa v174, v176, v166 dst_sel:DWORD dst_unused:UNUSED_PAD src0_sel:DWORD src1_sel:WORD_1
	v_fma_f16 v174, v81, v166, -v174
	v_mul_f16_sdwa v81, v81, v166 dst_sel:DWORD dst_unused:UNUSED_PAD src0_sel:DWORD src1_sel:WORD_1
	v_fma_f16 v81, v176, v166, v81
	s_waitcnt vmcnt(4)
	v_mul_f16_sdwa v175, v178, v32 dst_sel:DWORD dst_unused:UNUSED_PAD src0_sel:DWORD src1_sel:WORD_1
	v_fma_f16 v175, v66, v32, -v175
	v_mul_f16_sdwa v66, v66, v32 dst_sel:DWORD dst_unused:UNUSED_PAD src0_sel:DWORD src1_sel:WORD_1
	v_fma_f16 v66, v178, v32, v66
	v_mul_f16_sdwa v178, v181, v34 dst_sel:DWORD dst_unused:UNUSED_PAD src0_sel:DWORD src1_sel:WORD_1
	v_mul_f16_sdwa v176, v179, v33 dst_sel:DWORD dst_unused:UNUSED_PAD src0_sel:DWORD src1_sel:WORD_1
	v_fma_f16 v178, v78, v34, -v178
	v_mul_f16_sdwa v78, v78, v34 dst_sel:DWORD dst_unused:UNUSED_PAD src0_sel:DWORD src1_sel:WORD_1
	v_fma_f16 v176, v76, v33, -v176
	v_mul_f16_sdwa v76, v76, v33 dst_sel:DWORD dst_unused:UNUSED_PAD src0_sel:DWORD src1_sel:WORD_1
	v_fma_f16 v78, v181, v34, v78
	v_mul_f16_sdwa v181, v183, v167 dst_sel:DWORD dst_unused:UNUSED_PAD src0_sel:DWORD src1_sel:WORD_1
	v_fma_f16 v76, v179, v33, v76
	v_mul_f16_sdwa v179, v182, v35 dst_sel:DWORD dst_unused:UNUSED_PAD src0_sel:DWORD src1_sel:WORD_1
	v_fma_f16 v181, v82, v167, -v181
	v_mul_f16_sdwa v82, v82, v167 dst_sel:DWORD dst_unused:UNUSED_PAD src0_sel:DWORD src1_sel:WORD_1
	v_fma_f16 v179, v80, v35, -v179
	v_mul_f16_sdwa v80, v80, v35 dst_sel:DWORD dst_unused:UNUSED_PAD src0_sel:DWORD src1_sel:WORD_1
	v_fma_f16 v82, v183, v167, v82
	s_waitcnt vmcnt(3)
	v_mul_f16_sdwa v183, v186, v37 dst_sel:DWORD dst_unused:UNUSED_PAD src0_sel:DWORD src1_sel:WORD_1
	v_fma_f16 v80, v182, v35, v80
	v_mul_f16_sdwa v182, v185, v36 dst_sel:DWORD dst_unused:UNUSED_PAD src0_sel:DWORD src1_sel:WORD_1
	v_fma_f16 v183, v96, v37, -v183
	v_mul_f16_sdwa v96, v96, v37 dst_sel:DWORD dst_unused:UNUSED_PAD src0_sel:DWORD src1_sel:WORD_1
	v_fma_f16 v182, v83, v36, -v182
	v_mul_f16_sdwa v83, v83, v36 dst_sel:DWORD dst_unused:UNUSED_PAD src0_sel:DWORD src1_sel:WORD_1
	v_fma_f16 v96, v186, v37, v96
	v_mul_f16_sdwa v186, v188, v39 dst_sel:DWORD dst_unused:UNUSED_PAD src0_sel:DWORD src1_sel:WORD_1
	v_fma_f16 v83, v185, v36, v83
	v_mul_f16_sdwa v185, v187, v38 dst_sel:DWORD dst_unused:UNUSED_PAD src0_sel:DWORD src1_sel:WORD_1
	v_fma_f16 v186, v100, v39, -v186
	v_mul_f16_sdwa v100, v100, v39 dst_sel:DWORD dst_unused:UNUSED_PAD src0_sel:DWORD src1_sel:WORD_1
	v_fma_f16 v185, v98, v38, -v185
	v_mul_f16_sdwa v98, v98, v38 dst_sel:DWORD dst_unused:UNUSED_PAD src0_sel:DWORD src1_sel:WORD_1
	v_fma_f16 v100, v188, v39, v100
	v_fma_f16 v98, v187, v38, v98
	s_waitcnt vmcnt(2)
	v_mul_f16_sdwa v187, v189, v168 dst_sel:DWORD dst_unused:UNUSED_PAD src0_sel:DWORD src1_sel:WORD_1
	v_fma_f16 v187, v102, v168, -v187
	v_mul_f16_sdwa v102, v102, v168 dst_sel:DWORD dst_unused:UNUSED_PAD src0_sel:DWORD src1_sel:WORD_1
	v_fma_f16 v102, v189, v168, v102
	; wave barrier
	s_waitcnt vmcnt(1)
	v_mul_f16_sdwa v188, v191, v40 dst_sel:DWORD dst_unused:UNUSED_PAD src0_sel:DWORD src1_sel:WORD_1
	v_fma_f16 v188, v84, v40, -v188
	v_mul_f16_sdwa v84, v84, v40 dst_sel:DWORD dst_unused:UNUSED_PAD src0_sel:DWORD src1_sel:WORD_1
	v_fma_f16 v84, v191, v40, v84
	v_mul_f16_sdwa v191, v193, v42 dst_sel:DWORD dst_unused:UNUSED_PAD src0_sel:DWORD src1_sel:WORD_1
	v_mul_f16_sdwa v189, v192, v41 dst_sel:DWORD dst_unused:UNUSED_PAD src0_sel:DWORD src1_sel:WORD_1
	v_fma_f16 v191, v99, v42, -v191
	v_mul_f16_sdwa v99, v99, v42 dst_sel:DWORD dst_unused:UNUSED_PAD src0_sel:DWORD src1_sel:WORD_1
	v_fma_f16 v189, v97, v41, -v189
	v_mul_f16_sdwa v97, v97, v41 dst_sel:DWORD dst_unused:UNUSED_PAD src0_sel:DWORD src1_sel:WORD_1
	v_fma_f16 v99, v193, v42, v99
	s_waitcnt vmcnt(0)
	v_mul_f16_sdwa v193, v195, v169 dst_sel:DWORD dst_unused:UNUSED_PAD src0_sel:DWORD src1_sel:WORD_1
	v_fma_f16 v97, v192, v41, v97
	v_mul_f16_sdwa v192, v194, v43 dst_sel:DWORD dst_unused:UNUSED_PAD src0_sel:DWORD src1_sel:WORD_1
	v_fma_f16 v193, v103, v169, -v193
	v_mul_f16_sdwa v103, v103, v169 dst_sel:DWORD dst_unused:UNUSED_PAD src0_sel:DWORD src1_sel:WORD_1
	v_fma_f16 v192, v101, v43, -v192
	v_mul_f16_sdwa v101, v101, v43 dst_sel:DWORD dst_unused:UNUSED_PAD src0_sel:DWORD src1_sel:WORD_1
	v_fma_f16 v103, v195, v169, v103
	v_add_f16_e32 v195, v197, v200
	v_fma_f16 v101, v194, v43, v101
	v_add_f16_e32 v194, v51, v197
	v_fma_f16 v51, v195, -0.5, v51
	v_sub_f16_e32 v195, v55, v59
	v_fma_f16 v203, v195, s13, v51
	v_fma_f16 v51, v195, s12, v51
	v_add_f16_e32 v195, v67, v55
	v_add_f16_e32 v55, v55, v59
	;; [unrolled: 1-line block ×3, first 2 shown]
	v_fma_f16 v55, v55, -0.5, v67
	v_sub_f16_e32 v59, v197, v200
	v_add_f16_e32 v197, v198, v201
	v_fma_f16 v67, v59, s12, v55
	v_fma_f16 v55, v59, s13, v55
	v_add_f16_e32 v59, v196, v198
	v_fma_f16 v196, v197, -0.5, v196
	v_sub_f16_e32 v197, v57, v61
	v_add_f16_e32 v194, v194, v200
	v_fma_f16 v200, v197, s13, v196
	v_fma_f16 v196, v197, s12, v196
	v_add_f16_e32 v197, v53, v57
	v_add_f16_e32 v57, v57, v61
	v_fma_f16 v53, v57, -0.5, v53
	v_sub_f16_e32 v57, v198, v201
	v_add_f16_e32 v197, v197, v61
	v_fma_f16 v61, v57, s12, v53
	v_mul_f16_e32 v198, 0x3aee, v61
	v_fma_f16 v53, v57, s13, v53
	v_fma_f16 v198, v200, 0.5, v198
	v_mul_f16_e32 v204, -0.5, v196
	v_mul_f16_e32 v200, 0xbaee, v200
	v_fma_f16 v204, v53, s13, v204
	v_fma_f16 v61, v61, 0.5, v200
	v_mul_f16_e32 v53, -0.5, v53
	v_add_f16_e32 v200, v67, v61
	v_fma_f16 v53, v196, s12, v53
	v_sub_f16_e32 v61, v67, v61
	v_add_f16_e32 v67, v108, v110
	v_add_f16_e32 v196, v55, v53
	v_sub_f16_e32 v53, v55, v53
	v_add_f16_e32 v55, v52, v108
	v_fma_f16 v52, v67, -0.5, v52
	v_sub_f16_e32 v67, v56, v60
	v_add_f16_e32 v206, v195, v197
	v_sub_f16_e32 v195, v195, v197
	v_fma_f16 v197, v67, s13, v52
	v_fma_f16 v52, v67, s12, v52
	v_add_f16_e32 v67, v107, v56
	v_add_f16_e32 v56, v56, v60
	;; [unrolled: 1-line block ×3, first 2 shown]
	v_fma_f16 v56, v56, -0.5, v107
	v_sub_f16_e32 v60, v108, v110
	v_add_f16_e32 v108, v109, v104
	v_fma_f16 v107, v60, s12, v56
	v_fma_f16 v56, v60, s13, v56
	v_add_f16_e32 v60, v106, v109
	v_fma_f16 v106, v108, -0.5, v106
	v_sub_f16_e32 v108, v58, v62
	v_add_f16_e32 v55, v55, v110
	v_fma_f16 v110, v108, s13, v106
	v_fma_f16 v106, v108, s12, v106
	v_add_f16_e32 v108, v54, v58
	v_add_f16_e32 v58, v58, v62
	v_fma_f16 v54, v58, -0.5, v54
	v_sub_f16_e32 v58, v109, v104
	v_add_f16_e32 v59, v59, v201
	v_add_f16_e32 v108, v108, v62
	v_fma_f16 v62, v58, s12, v54
	v_add_f16_e32 v57, v194, v59
	v_add_f16_e32 v201, v203, v198
	v_sub_f16_e32 v59, v194, v59
	v_sub_f16_e32 v194, v203, v198
	v_add_f16_e32 v60, v60, v104
	v_fma_f16 v54, v58, s13, v54
	v_mul_f16_e32 v104, 0x3aee, v62
	v_mul_f16_e32 v198, -0.5, v106
	v_fma_f16 v104, v110, 0.5, v104
	v_fma_f16 v198, v54, s13, v198
	v_mul_f16_e32 v54, -0.5, v54
	v_add_f16_e32 v58, v55, v60
	v_add_f16_e32 v109, v197, v104
	v_mul_f16_e32 v110, 0xbaee, v110
	v_fma_f16 v54, v106, s12, v54
	v_sub_f16_e32 v55, v55, v60
	v_sub_f16_e32 v60, v197, v104
	v_add_f16_e32 v104, v170, v173
	v_fma_f16 v62, v62, 0.5, v110
	v_add_f16_e32 v106, v56, v54
	v_sub_f16_e32 v54, v56, v54
	v_add_f16_e32 v56, v63, v170
	v_fma_f16 v63, v104, -0.5, v63
	v_sub_f16_e32 v104, v75, v79
	v_add_f16_e32 v110, v107, v62
	v_sub_f16_e32 v62, v107, v62
	v_fma_f16 v107, v104, s13, v63
	v_fma_f16 v63, v104, s12, v63
	v_add_f16_e32 v104, v171, v75
	v_add_f16_e32 v75, v75, v79
	;; [unrolled: 1-line block ×3, first 2 shown]
	v_fma_f16 v75, v75, -0.5, v171
	v_sub_f16_e32 v79, v170, v173
	v_add_f16_e32 v170, v172, v174
	v_add_f16_e32 v205, v51, v204
	v_sub_f16_e32 v51, v51, v204
	v_add_f16_e32 v204, v67, v108
	v_sub_f16_e32 v67, v67, v108
	v_fma_f16 v108, v79, s12, v75
	v_fma_f16 v75, v79, s13, v75
	v_add_f16_e32 v79, v105, v172
	v_fma_f16 v105, v170, -0.5, v105
	v_sub_f16_e32 v170, v77, v81
	v_fma_f16 v171, v170, s13, v105
	v_fma_f16 v105, v170, s12, v105
	v_add_f16_e32 v170, v65, v77
	v_add_f16_e32 v77, v77, v81
	v_fma_f16 v65, v77, -0.5, v65
	v_sub_f16_e32 v77, v172, v174
	v_add_f16_e32 v170, v170, v81
	v_fma_f16 v81, v77, s12, v65
	v_add_f16_e32 v79, v79, v174
	v_fma_f16 v65, v77, s13, v65
	v_mul_f16_e32 v172, 0x3aee, v81
	v_mul_f16_e32 v174, -0.5, v105
	v_add_f16_e32 v56, v56, v173
	v_fma_f16 v172, v171, 0.5, v172
	v_fma_f16 v174, v65, s13, v174
	v_mul_f16_e32 v65, -0.5, v65
	v_add_f16_e32 v77, v56, v79
	v_add_f16_e32 v173, v107, v172
	v_mul_f16_e32 v171, 0xbaee, v171
	v_fma_f16 v65, v105, s12, v65
	v_sub_f16_e32 v56, v56, v79
	v_sub_f16_e32 v79, v107, v172
	v_add_f16_e32 v107, v176, v179
	v_fma_f16 v81, v81, 0.5, v171
	v_add_f16_e32 v105, v75, v65
	v_sub_f16_e32 v65, v75, v65
	v_add_f16_e32 v75, v64, v176
	v_fma_f16 v64, v107, -0.5, v64
	v_sub_f16_e32 v107, v76, v80
	v_add_f16_e32 v171, v108, v81
	v_sub_f16_e32 v81, v108, v81
	v_fma_f16 v108, v107, s13, v64
	v_fma_f16 v64, v107, s12, v64
	v_add_f16_e32 v107, v177, v76
	v_add_f16_e32 v76, v76, v80
	;; [unrolled: 1-line block ×4, first 2 shown]
	v_sub_f16_e32 v63, v63, v174
	v_add_f16_e32 v107, v107, v80
	v_fma_f16 v76, v76, -0.5, v177
	v_sub_f16_e32 v80, v176, v179
	v_fma_f16 v172, v172, -0.5, v175
	v_sub_f16_e32 v174, v78, v82
	v_add_f16_e32 v203, v52, v198
	v_sub_f16_e32 v52, v52, v198
	v_add_f16_e32 v198, v104, v170
	v_sub_f16_e32 v104, v104, v170
	v_fma_f16 v170, v80, s12, v76
	v_fma_f16 v76, v80, s13, v76
	v_add_f16_e32 v80, v175, v178
	v_fma_f16 v175, v174, s13, v172
	v_fma_f16 v172, v174, s12, v172
	v_add_f16_e32 v174, v66, v78
	v_add_f16_e32 v78, v78, v82
	v_fma_f16 v66, v78, -0.5, v66
	v_sub_f16_e32 v78, v178, v181
	v_add_f16_e32 v174, v174, v82
	v_fma_f16 v82, v78, s12, v66
	v_fma_f16 v66, v78, s13, v66
	v_mul_f16_e32 v176, 0x3aee, v82
	v_mul_f16_e32 v178, -0.5, v172
	v_add_f16_e32 v75, v75, v179
	v_add_f16_e32 v80, v80, v181
	v_fma_f16 v176, v175, 0.5, v176
	v_fma_f16 v178, v66, s13, v178
	v_add_f16_e32 v181, v107, v174
	v_mul_f16_e32 v66, -0.5, v66
	v_sub_f16_e32 v107, v107, v174
	v_add_f16_e32 v174, v185, v187
	v_add_f16_e32 v78, v75, v80
	;; [unrolled: 1-line block ×3, first 2 shown]
	v_mul_f16_e32 v175, 0xbaee, v175
	v_fma_f16 v66, v172, s12, v66
	v_sub_f16_e32 v75, v75, v80
	v_sub_f16_e32 v80, v108, v176
	v_add_f16_e32 v108, v183, v186
	v_fma_f16 v174, v174, -0.5, v182
	v_sub_f16_e32 v176, v98, v102
	v_add_f16_e32 v179, v64, v178
	v_fma_f16 v82, v82, 0.5, v175
	v_add_f16_e32 v207, v76, v66
	v_sub_f16_e32 v64, v64, v178
	v_sub_f16_e32 v66, v76, v66
	v_add_f16_e32 v76, v44, v183
	v_fma_f16 v44, v108, -0.5, v44
	v_sub_f16_e32 v108, v96, v100
	v_fma_f16 v178, v176, s13, v174
	v_fma_f16 v174, v176, s12, v174
	v_add_f16_e32 v176, v83, v98
	v_add_f16_e32 v98, v98, v102
	;; [unrolled: 1-line block ×3, first 2 shown]
	v_sub_f16_e32 v82, v170, v82
	v_fma_f16 v170, v108, s13, v44
	v_fma_f16 v44, v108, s12, v44
	v_add_f16_e32 v108, v184, v96
	v_add_f16_e32 v96, v96, v100
	v_fma_f16 v83, v98, -0.5, v83
	v_sub_f16_e32 v98, v185, v187
	v_add_f16_e32 v108, v108, v100
	v_fma_f16 v96, v96, -0.5, v184
	v_sub_f16_e32 v100, v183, v186
	v_add_f16_e32 v176, v176, v102
	v_fma_f16 v102, v98, s12, v83
	v_fma_f16 v172, v100, s12, v96
	;; [unrolled: 1-line block ×3, first 2 shown]
	v_add_f16_e32 v100, v182, v185
	v_fma_f16 v83, v98, s13, v83
	v_mul_f16_e32 v182, 0x3aee, v102
	v_mul_f16_e32 v184, -0.5, v174
	v_add_f16_e32 v76, v76, v186
	v_add_f16_e32 v100, v100, v187
	v_fma_f16 v182, v178, 0.5, v182
	v_fma_f16 v184, v83, s13, v184
	v_add_f16_e32 v186, v108, v176
	v_mul_f16_e32 v83, -0.5, v83
	v_sub_f16_e32 v108, v108, v176
	v_add_f16_e32 v176, v191, v193
	v_add_f16_e32 v98, v76, v100
	;; [unrolled: 1-line block ×3, first 2 shown]
	v_mul_f16_e32 v178, 0xbaee, v178
	v_fma_f16 v83, v174, s12, v83
	v_sub_f16_e32 v76, v76, v100
	v_sub_f16_e32 v100, v170, v182
	v_add_f16_e32 v170, v189, v192
	v_fma_f16 v176, v176, -0.5, v188
	v_sub_f16_e32 v182, v99, v103
	v_add_f16_e32 v185, v44, v184
	v_fma_f16 v102, v102, 0.5, v178
	v_add_f16_e32 v187, v96, v83
	v_sub_f16_e32 v44, v44, v184
	v_sub_f16_e32 v83, v96, v83
	v_add_f16_e32 v96, v45, v189
	v_fma_f16 v45, v170, -0.5, v45
	v_sub_f16_e32 v170, v97, v101
	v_fma_f16 v184, v182, s13, v176
	v_fma_f16 v176, v182, s12, v176
	v_add_f16_e32 v182, v84, v99
	v_add_f16_e32 v99, v99, v103
	;; [unrolled: 1-line block ×3, first 2 shown]
	v_sub_f16_e32 v102, v172, v102
	v_fma_f16 v172, v170, s13, v45
	v_fma_f16 v45, v170, s12, v45
	v_add_f16_e32 v170, v190, v97
	v_add_f16_e32 v97, v97, v101
	v_fma_f16 v84, v99, -0.5, v84
	v_sub_f16_e32 v99, v191, v193
	v_fma_f16 v97, v97, -0.5, v190
	v_add_f16_e32 v182, v182, v103
	v_fma_f16 v103, v99, s12, v84
	v_fma_f16 v84, v99, s13, v84
	v_mul_f16_e32 v190, -0.5, v176
	v_add_f16_e32 v170, v170, v101
	v_sub_f16_e32 v101, v189, v192
	v_fma_f16 v190, v84, s13, v190
	v_mul_f16_e32 v84, -0.5, v84
	v_fma_f16 v174, v101, s12, v97
	v_fma_f16 v97, v101, s13, v97
	;; [unrolled: 1-line block ×3, first 2 shown]
	v_add_f16_e32 v176, v97, v84
	v_sub_f16_e32 v84, v97, v84
	v_pack_b32_f16 v57, v57, v206
	v_pack_b32_f16 v97, v201, v200
	ds_write2_b32 v111, v57, v97 offset1:60
	v_pack_b32_f16 v57, v205, v196
	v_pack_b32_f16 v59, v59, v195
	ds_write2_b32 v111, v57, v59 offset0:120 offset1:180
	v_pack_b32_f16 v57, v194, v61
	v_pack_b32_f16 v51, v51, v53
	v_add_f16_e32 v101, v188, v191
	v_mul_f16_e32 v188, 0x3aee, v103
	ds_write2_b32 v95, v57, v51 offset0:112 offset1:172
	v_pack_b32_f16 v51, v58, v204
	v_pack_b32_f16 v53, v109, v110
	v_add_f16_e32 v96, v96, v192
	v_add_f16_e32 v101, v101, v193
	v_fma_f16 v188, v184, 0.5, v188
	ds_write2_b32 v87, v51, v53 offset0:104 offset1:164
	v_pack_b32_f16 v51, v203, v106
	v_pack_b32_f16 v53, v55, v67
	v_add_f16_e32 v99, v96, v101
	v_add_f16_e32 v189, v172, v188
	v_sub_f16_e32 v96, v96, v101
	v_sub_f16_e32 v101, v172, v188
	ds_write2_b32 v94, v51, v53 offset0:96 offset1:156
	v_pack_b32_f16 v51, v60, v62
	v_pack_b32_f16 v52, v52, v54
	v_lshlrev_b32_e32 v172, 2, v46
	ds_write2_b32 v93, v51, v52 offset0:88 offset1:148
	v_pack_b32_f16 v46, v77, v198
	v_pack_b32_f16 v51, v173, v171
	v_add_u32_e32 v52, 0xa00, v172
	ds_write2_b32 v52, v46, v51 offset0:80 offset1:140
	v_pack_b32_f16 v46, v197, v105
	v_pack_b32_f16 v51, v56, v104
	v_add_u32_e32 v52, 0xc00, v172
	ds_write2_b32 v52, v46, v51 offset0:72 offset1:132
	v_pack_b32_f16 v46, v79, v81
	v_pack_b32_f16 v51, v63, v65
	v_lshlrev_b32_e32 v171, 2, v47
	v_mul_f16_e32 v184, 0xbaee, v184
	ds_write2_b32 v52, v46, v51 offset0:192 offset1:252
	v_pack_b32_f16 v46, v78, v181
	v_pack_b32_f16 v47, v177, v175
	v_add_u32_e32 v51, 0x1000, v171
	v_fma_f16 v103, v103, 0.5, v184
	ds_write2_b32 v51, v46, v47 offset0:56 offset1:116
	v_pack_b32_f16 v46, v179, v207
	v_pack_b32_f16 v47, v75, v107
	v_add_f16_e32 v184, v174, v103
	v_sub_f16_e32 v103, v174, v103
	ds_write2_b32 v51, v46, v47 offset0:176 offset1:236
	v_pack_b32_f16 v46, v80, v82
	v_pack_b32_f16 v47, v64, v66
	v_add_u32_e32 v51, 0x1400, v171
	v_lshlrev_b32_e32 v174, 2, v199
	ds_write2_b32 v51, v46, v47 offset0:40 offset1:100
	v_pack_b32_f16 v46, v98, v186
	v_pack_b32_f16 v47, v183, v178
	v_add_u32_e32 v51, 0x1400, v174
	ds_write2_b32 v51, v46, v47 offset0:160 offset1:220
	v_pack_b32_f16 v46, v185, v187
	v_pack_b32_f16 v47, v76, v108
	v_add_u32_e32 v51, 0x1800, v174
	v_add_f16_e32 v192, v170, v182
	ds_write2_b32 v51, v46, v47 offset0:24 offset1:84
	v_pack_b32_f16 v46, v100, v102
	v_pack_b32_f16 v44, v44, v83
	v_lshlrev_b32_e32 v173, 2, v202
	v_add_f16_e32 v191, v45, v190
	v_sub_f16_e32 v170, v170, v182
	ds_write2_b32 v51, v46, v44 offset0:144 offset1:204
	v_pack_b32_f16 v44, v99, v192
	v_pack_b32_f16 v46, v189, v184
	v_add_u32_e32 v47, 0x1c00, v173
	v_sub_f16_e32 v45, v45, v190
	ds_write2_b32 v47, v44, v46 offset0:8 offset1:68
	v_pack_b32_f16 v44, v191, v176
	v_pack_b32_f16 v46, v96, v170
	ds_write2_b32 v47, v44, v46 offset0:128 offset1:188
	v_pack_b32_f16 v44, v101, v103
	v_pack_b32_f16 v45, v45, v84
	v_add_u32_e32 v46, 0x1e00, v173
	ds_write2_b32 v46, v44, v45 offset0:120 offset1:180
	s_waitcnt lgkmcnt(0)
	; wave barrier
	s_waitcnt lgkmcnt(0)
	global_load_dwordx4 v[44:47], v[48:49], off offset:1400
	global_load_dword v170, v[48:49], off offset:1416
	v_mad_u64_u32 v[64:65], s[4:5], v50, 20, s[4:5]
	ds_read2_b32 v[75:76], v111 offset1:60
	ds_read2_b32 v[77:78], v87 offset0:104 offset1:164
	ds_read2_b32 v[79:80], v88 offset0:80 offset1:140
	;; [unrolled: 1-line block ×4, first 2 shown]
	global_load_dwordx4 v[48:51], v[64:65], off offset:1400
	ds_read2_b32 v[96:97], v86 offset0:8 offset1:68
	ds_read2_b32 v[98:99], v111 offset0:120 offset1:180
	;; [unrolled: 1-line block ×7, first 2 shown]
	global_load_dword v175, v[64:65], off offset:1416
	global_load_dwordx4 v[52:55], v[64:65], off offset:2600
	s_waitcnt lgkmcnt(8)
	v_lshrrev_b32_e32 v178, 16, v81
	v_lshrrev_b32_e32 v60, 16, v77
	s_waitcnt lgkmcnt(7)
	v_lshrrev_b32_e32 v179, 16, v83
	s_waitcnt lgkmcnt(6)
	v_lshrrev_b32_e32 v193, 16, v96
	ds_read2_b32 v[181:182], v95 offset0:112 offset1:172
	ds_read2_b32 v[183:184], v93 offset0:88 offset1:148
	ds_read2_b32 v[185:186], v92 offset0:192 offset1:252
	ds_read2_b32 v[187:188], v90 offset0:40 offset1:100
	ds_read2_b32 v[189:190], v91 offset0:144 offset1:204
	global_load_dword v176, v[64:65], off offset:2616
	global_load_dwordx4 v[56:59], v[64:65], off offset:3800
	global_load_dword v177, v[64:65], off offset:3816
	v_lshrrev_b32_e32 v61, 16, v79
	v_lshrrev_b32_e32 v196, 16, v78
	s_movk_i32 s4, 0x4b0
	v_lshrrev_b32_e32 v197, 16, v80
	v_add_co_u32_e32 v66, vcc, s4, v64
	v_lshrrev_b32_e32 v198, 16, v82
	v_addc_co_u32_e32 v67, vcc, 0, v65, vcc
	s_movk_i32 s4, 0x960
	v_lshrrev_b32_e32 v199, 16, v84
	s_waitcnt lgkmcnt(9)
	v_lshrrev_b32_e32 v202, 16, v100
	v_lshrrev_b32_e32 v200, 16, v97
	s_waitcnt lgkmcnt(8)
	v_lshrrev_b32_e32 v203, 16, v102
	s_waitcnt lgkmcnt(6)
	v_lshrrev_b32_e32 v205, 16, v106
	v_lshrrev_b32_e32 v204, 16, v104
	s_waitcnt lgkmcnt(5)
	v_lshrrev_b32_e32 v206, 16, v108
	v_lshrrev_b32_e32 v209, 16, v103
	;; [unrolled: 1-line block ×5, first 2 shown]
	ds_read2_b32 v[191:192], v180 offset0:120 offset1:180
	v_lshrrev_b32_e32 v211, 16, v107
	s_waitcnt lgkmcnt(4)
	v_lshrrev_b32_e32 v214, 16, v183
	s_waitcnt lgkmcnt(2)
	v_lshrrev_b32_e32 v216, 16, v187
	v_lshrrev_b32_e32 v215, 16, v185
	s_waitcnt lgkmcnt(1)
	v_lshrrev_b32_e32 v217, 16, v189
	v_lshrrev_b32_e32 v220, 16, v184
	s_waitcnt lgkmcnt(0)
	v_lshrrev_b32_e32 v218, 16, v191
	v_lshrrev_b32_e32 v221, 16, v186
	v_lshrrev_b32_e32 v223, 16, v190
	;; [unrolled: 1-line block ×10, first 2 shown]
	s_waitcnt vmcnt(7)
	v_mul_f16_sdwa v194, v178, v46 dst_sel:DWORD dst_unused:UNUSED_PAD src0_sel:DWORD src1_sel:WORD_1
	v_fma_f16 v227, v81, v46, -v194
	v_mul_f16_sdwa v81, v81, v46 dst_sel:DWORD dst_unused:UNUSED_PAD src0_sel:DWORD src1_sel:WORD_1
	v_mul_f16_sdwa v62, v60, v44 dst_sel:DWORD dst_unused:UNUSED_PAD src0_sel:DWORD src1_sel:WORD_1
	v_fma_f16 v81, v178, v46, v81
	v_mul_f16_sdwa v178, v179, v47 dst_sel:DWORD dst_unused:UNUSED_PAD src0_sel:DWORD src1_sel:WORD_1
	v_fma_f16 v225, v77, v44, -v62
	v_mul_f16_sdwa v62, v77, v44 dst_sel:DWORD dst_unused:UNUSED_PAD src0_sel:DWORD src1_sel:WORD_1
	v_fma_f16 v228, v83, v47, -v178
	s_waitcnt vmcnt(6)
	v_mul_f16_sdwa v178, v193, v170 dst_sel:DWORD dst_unused:UNUSED_PAD src0_sel:DWORD src1_sel:WORD_1
	v_fma_f16 v77, v60, v44, v62
	v_mul_f16_sdwa v60, v61, v45 dst_sel:DWORD dst_unused:UNUSED_PAD src0_sel:DWORD src1_sel:WORD_1
	v_mul_f16_sdwa v83, v83, v47 dst_sel:DWORD dst_unused:UNUSED_PAD src0_sel:DWORD src1_sel:WORD_1
	v_fma_f16 v229, v96, v170, -v178
	s_waitcnt vmcnt(5)
	v_mul_f16_sdwa v178, v196, v48 dst_sel:DWORD dst_unused:UNUSED_PAD src0_sel:DWORD src1_sel:WORD_1
	v_fma_f16 v226, v79, v45, -v60
	v_mul_f16_sdwa v60, v79, v45 dst_sel:DWORD dst_unused:UNUSED_PAD src0_sel:DWORD src1_sel:WORD_1
	v_fma_f16 v83, v179, v47, v83
	v_mul_f16_sdwa v96, v96, v170 dst_sel:DWORD dst_unused:UNUSED_PAD src0_sel:DWORD src1_sel:WORD_1
	v_fma_f16 v230, v78, v48, -v178
	v_mul_f16_sdwa v78, v78, v48 dst_sel:DWORD dst_unused:UNUSED_PAD src0_sel:DWORD src1_sel:WORD_1
	v_mul_f16_sdwa v179, v197, v49 dst_sel:DWORD dst_unused:UNUSED_PAD src0_sel:DWORD src1_sel:WORD_1
	v_fma_f16 v79, v61, v45, v60
	global_load_dwordx4 v[60:63], v[66:67], off offset:3800
	global_load_dword v178, v[66:67], off offset:3816
	v_fma_f16 v96, v193, v170, v96
	v_add_co_u32_e32 v193, vcc, s4, v64
	v_fma_f16 v78, v196, v48, v78
	v_fma_f16 v196, v80, v49, -v179
	v_mul_f16_sdwa v80, v80, v49 dst_sel:DWORD dst_unused:UNUSED_PAD src0_sel:DWORD src1_sel:WORD_1
	v_mul_f16_sdwa v179, v198, v50 dst_sel:DWORD dst_unused:UNUSED_PAD src0_sel:DWORD src1_sel:WORD_1
	v_addc_co_u32_e32 v194, vcc, 0, v65, vcc
	v_fma_f16 v80, v197, v49, v80
	v_fma_f16 v197, v82, v50, -v179
	v_mul_f16_sdwa v82, v82, v50 dst_sel:DWORD dst_unused:UNUSED_PAD src0_sel:DWORD src1_sel:WORD_1
	v_mul_f16_sdwa v179, v199, v51 dst_sel:DWORD dst_unused:UNUSED_PAD src0_sel:DWORD src1_sel:WORD_1
	v_fma_f16 v82, v198, v50, v82
	v_fma_f16 v198, v84, v51, -v179
	global_load_dword v179, v[193:194], off offset:3816
	global_load_dwordx4 v[64:67], v[193:194], off offset:3800
	v_mul_f16_sdwa v84, v84, v51 dst_sel:DWORD dst_unused:UNUSED_PAD src0_sel:DWORD src1_sel:WORD_1
	s_waitcnt vmcnt(7)
	v_mul_f16_sdwa v194, v202, v52 dst_sel:DWORD dst_unused:UNUSED_PAD src0_sel:DWORD src1_sel:WORD_1
	v_fma_f16 v84, v199, v51, v84
	v_mul_f16_sdwa v199, v200, v175 dst_sel:DWORD dst_unused:UNUSED_PAD src0_sel:DWORD src1_sel:WORD_1
	v_fma_f16 v194, v100, v52, -v194
	v_mul_f16_sdwa v100, v100, v52 dst_sel:DWORD dst_unused:UNUSED_PAD src0_sel:DWORD src1_sel:WORD_1
	v_fma_f16 v193, v97, v175, -v199
	v_mul_f16_sdwa v97, v97, v175 dst_sel:DWORD dst_unused:UNUSED_PAD src0_sel:DWORD src1_sel:WORD_1
	v_fma_f16 v100, v202, v52, v100
	v_mul_f16_sdwa v199, v203, v53 dst_sel:DWORD dst_unused:UNUSED_PAD src0_sel:DWORD src1_sel:WORD_1
	v_mul_f16_sdwa v202, v205, v55 dst_sel:DWORD dst_unused:UNUSED_PAD src0_sel:DWORD src1_sel:WORD_1
	v_fma_f16 v97, v200, v175, v97
	v_fma_f16 v199, v102, v53, -v199
	v_mul_f16_sdwa v102, v102, v53 dst_sel:DWORD dst_unused:UNUSED_PAD src0_sel:DWORD src1_sel:WORD_1
	v_mul_f16_sdwa v200, v204, v54 dst_sel:DWORD dst_unused:UNUSED_PAD src0_sel:DWORD src1_sel:WORD_1
	v_fma_f16 v202, v106, v55, -v202
	v_mul_f16_sdwa v106, v106, v55 dst_sel:DWORD dst_unused:UNUSED_PAD src0_sel:DWORD src1_sel:WORD_1
	v_fma_f16 v102, v203, v53, v102
	v_fma_f16 v200, v104, v54, -v200
	v_mul_f16_sdwa v104, v104, v54 dst_sel:DWORD dst_unused:UNUSED_PAD src0_sel:DWORD src1_sel:WORD_1
	v_fma_f16 v106, v205, v55, v106
	s_waitcnt vmcnt(6)
	v_mul_f16_sdwa v203, v206, v176 dst_sel:DWORD dst_unused:UNUSED_PAD src0_sel:DWORD src1_sel:WORD_1
	s_waitcnt vmcnt(5)
	v_mul_f16_sdwa v205, v209, v57 dst_sel:DWORD dst_unused:UNUSED_PAD src0_sel:DWORD src1_sel:WORD_1
	v_fma_f16 v104, v204, v54, v104
	v_fma_f16 v203, v108, v176, -v203
	v_mul_f16_sdwa v108, v108, v176 dst_sel:DWORD dst_unused:UNUSED_PAD src0_sel:DWORD src1_sel:WORD_1
	v_mul_f16_sdwa v204, v208, v56 dst_sel:DWORD dst_unused:UNUSED_PAD src0_sel:DWORD src1_sel:WORD_1
	v_fma_f16 v205, v103, v57, -v205
	v_mul_f16_sdwa v103, v103, v57 dst_sel:DWORD dst_unused:UNUSED_PAD src0_sel:DWORD src1_sel:WORD_1
	v_fma_f16 v108, v206, v176, v108
	v_fma_f16 v204, v101, v56, -v204
	v_mul_f16_sdwa v101, v101, v56 dst_sel:DWORD dst_unused:UNUSED_PAD src0_sel:DWORD src1_sel:WORD_1
	v_fma_f16 v103, v209, v57, v103
	v_mul_f16_sdwa v206, v210, v58 dst_sel:DWORD dst_unused:UNUSED_PAD src0_sel:DWORD src1_sel:WORD_1
	s_waitcnt vmcnt(4)
	v_mul_f16_sdwa v209, v212, v177 dst_sel:DWORD dst_unused:UNUSED_PAD src0_sel:DWORD src1_sel:WORD_1
	v_fma_f16 v101, v208, v56, v101
	v_fma_f16 v206, v105, v58, -v206
	v_mul_f16_sdwa v105, v105, v58 dst_sel:DWORD dst_unused:UNUSED_PAD src0_sel:DWORD src1_sel:WORD_1
	v_mul_f16_sdwa v208, v211, v59 dst_sel:DWORD dst_unused:UNUSED_PAD src0_sel:DWORD src1_sel:WORD_1
	v_fma_f16 v209, v109, v177, -v209
	v_mul_f16_sdwa v109, v109, v177 dst_sel:DWORD dst_unused:UNUSED_PAD src0_sel:DWORD src1_sel:WORD_1
	v_fma_f16 v105, v210, v58, v105
	v_fma_f16 v208, v107, v59, -v208
	v_mul_f16_sdwa v107, v107, v59 dst_sel:DWORD dst_unused:UNUSED_PAD src0_sel:DWORD src1_sel:WORD_1
	v_fma_f16 v109, v212, v177, v109
	v_fma_f16 v107, v211, v59, v107
	s_movk_i32 s4, 0x1000
	s_waitcnt vmcnt(3)
	v_mul_f16_sdwa v210, v214, v60 dst_sel:DWORD dst_unused:UNUSED_PAD src0_sel:DWORD src1_sel:WORD_1
	v_mul_f16_sdwa v212, v216, v62 dst_sel:DWORD dst_unused:UNUSED_PAD src0_sel:DWORD src1_sel:WORD_1
	v_fma_f16 v210, v183, v60, -v210
	v_mul_f16_sdwa v183, v183, v60 dst_sel:DWORD dst_unused:UNUSED_PAD src0_sel:DWORD src1_sel:WORD_1
	v_mul_f16_sdwa v211, v215, v61 dst_sel:DWORD dst_unused:UNUSED_PAD src0_sel:DWORD src1_sel:WORD_1
	v_fma_f16 v212, v187, v62, -v212
	v_mul_f16_sdwa v187, v187, v62 dst_sel:DWORD dst_unused:UNUSED_PAD src0_sel:DWORD src1_sel:WORD_1
	v_fma_f16 v183, v214, v60, v183
	v_fma_f16 v211, v185, v61, -v211
	v_mul_f16_sdwa v185, v185, v61 dst_sel:DWORD dst_unused:UNUSED_PAD src0_sel:DWORD src1_sel:WORD_1
	v_fma_f16 v187, v216, v62, v187
	v_mul_f16_sdwa v214, v217, v63 dst_sel:DWORD dst_unused:UNUSED_PAD src0_sel:DWORD src1_sel:WORD_1
	v_fma_f16 v185, v215, v61, v185
	v_fma_f16 v214, v189, v63, -v214
	v_mul_f16_sdwa v189, v189, v63 dst_sel:DWORD dst_unused:UNUSED_PAD src0_sel:DWORD src1_sel:WORD_1
	s_waitcnt vmcnt(2)
	v_mul_f16_sdwa v215, v218, v178 dst_sel:DWORD dst_unused:UNUSED_PAD src0_sel:DWORD src1_sel:WORD_1
	v_fma_f16 v189, v217, v63, v189
	v_fma_f16 v215, v191, v178, -v215
	s_waitcnt vmcnt(0)
	v_mul_f16_sdwa v216, v220, v64 dst_sel:DWORD dst_unused:UNUSED_PAD src0_sel:DWORD src1_sel:WORD_1
	v_fma_f16 v216, v184, v64, -v216
	v_mul_f16_sdwa v184, v184, v64 dst_sel:DWORD dst_unused:UNUSED_PAD src0_sel:DWORD src1_sel:WORD_1
	v_mul_f16_sdwa v191, v191, v178 dst_sel:DWORD dst_unused:UNUSED_PAD src0_sel:DWORD src1_sel:WORD_1
	v_fma_f16 v184, v220, v64, v184
	v_mul_f16_sdwa v217, v221, v65 dst_sel:DWORD dst_unused:UNUSED_PAD src0_sel:DWORD src1_sel:WORD_1
	v_mul_f16_sdwa v220, v223, v67 dst_sel:DWORD dst_unused:UNUSED_PAD src0_sel:DWORD src1_sel:WORD_1
	v_fma_f16 v191, v218, v178, v191
	v_fma_f16 v217, v186, v65, -v217
	v_mul_f16_sdwa v186, v186, v65 dst_sel:DWORD dst_unused:UNUSED_PAD src0_sel:DWORD src1_sel:WORD_1
	v_mul_f16_sdwa v218, v222, v66 dst_sel:DWORD dst_unused:UNUSED_PAD src0_sel:DWORD src1_sel:WORD_1
	v_fma_f16 v220, v190, v67, -v220
	v_mul_f16_sdwa v190, v190, v67 dst_sel:DWORD dst_unused:UNUSED_PAD src0_sel:DWORD src1_sel:WORD_1
	v_fma_f16 v186, v221, v65, v186
	v_fma_f16 v218, v188, v66, -v218
	v_mul_f16_sdwa v188, v188, v66 dst_sel:DWORD dst_unused:UNUSED_PAD src0_sel:DWORD src1_sel:WORD_1
	v_fma_f16 v190, v223, v67, v190
	v_mul_f16_sdwa v221, v224, v179 dst_sel:DWORD dst_unused:UNUSED_PAD src0_sel:DWORD src1_sel:WORD_1
	v_add_f16_e32 v223, v226, v228
	v_fma_f16 v188, v222, v66, v188
	v_fma_f16 v221, v192, v179, -v221
	v_mul_f16_sdwa v192, v192, v179 dst_sel:DWORD dst_unused:UNUSED_PAD src0_sel:DWORD src1_sel:WORD_1
	v_add_f16_e32 v222, v75, v226
	v_fma_f16 v75, v223, -0.5, v75
	v_sub_f16_e32 v223, v79, v83
	v_fma_f16 v192, v224, v179, v192
	v_fma_f16 v224, v223, s13, v75
	;; [unrolled: 1-line block ×3, first 2 shown]
	v_add_f16_e32 v223, v110, v79
	v_add_f16_e32 v79, v79, v83
	;; [unrolled: 1-line block ×3, first 2 shown]
	v_fma_f16 v79, v79, -0.5, v110
	v_sub_f16_e32 v83, v226, v228
	v_add_f16_e32 v226, v227, v229
	v_fma_f16 v110, v83, s12, v79
	v_fma_f16 v79, v83, s13, v79
	v_add_f16_e32 v83, v225, v227
	v_fma_f16 v225, v226, -0.5, v225
	v_sub_f16_e32 v226, v81, v96
	v_add_f16_e32 v222, v222, v228
	v_fma_f16 v228, v226, s13, v225
	v_fma_f16 v225, v226, s12, v225
	v_add_f16_e32 v226, v77, v81
	v_add_f16_e32 v81, v81, v96
	v_fma_f16 v77, v81, -0.5, v77
	v_sub_f16_e32 v81, v227, v229
	v_add_f16_e32 v226, v226, v96
	v_fma_f16 v96, v81, s12, v77
	v_fma_f16 v77, v81, s13, v77
	v_mul_f16_e32 v227, 0x3aee, v96
	v_mul_f16_e32 v231, -0.5, v225
	v_fma_f16 v227, v228, 0.5, v227
	v_fma_f16 v231, v77, s13, v231
	v_mul_f16_e32 v228, 0xbaee, v228
	v_mul_f16_e32 v77, -0.5, v77
	v_fma_f16 v96, v96, 0.5, v228
	v_fma_f16 v77, v225, s12, v77
	v_add_f16_e32 v83, v83, v229
	v_add_f16_e32 v228, v110, v96
	v_add_f16_e32 v225, v79, v77
	v_sub_f16_e32 v96, v110, v96
	v_sub_f16_e32 v110, v79, v77
	v_add_f16_e32 v77, v196, v198
	v_add_f16_e32 v81, v222, v83
	;; [unrolled: 1-line block ×4, first 2 shown]
	v_sub_f16_e32 v83, v222, v83
	v_sub_f16_e32 v222, v224, v227
	;; [unrolled: 1-line block ×3, first 2 shown]
	v_add_f16_e32 v75, v76, v196
	v_fma_f16 v76, v77, -0.5, v76
	v_sub_f16_e32 v77, v80, v84
	v_fma_f16 v79, v77, s13, v76
	v_fma_f16 v76, v77, s12, v76
	v_add_f16_e32 v77, v195, v80
	v_add_f16_e32 v77, v77, v84
	;; [unrolled: 1-line block ×3, first 2 shown]
	v_sub_f16_e32 v84, v196, v198
	v_add_f16_e32 v196, v197, v193
	v_add_f16_e32 v75, v75, v198
	v_fma_f16 v196, v196, -0.5, v230
	v_sub_f16_e32 v198, v82, v97
	v_add_f16_e32 v233, v223, v226
	v_sub_f16_e32 v223, v223, v226
	v_fma_f16 v226, v198, s13, v196
	v_fma_f16 v196, v198, s12, v196
	v_add_f16_e32 v198, v78, v82
	v_add_f16_e32 v82, v82, v97
	v_fma_f16 v80, v80, -0.5, v195
	v_fma_f16 v78, v82, -0.5, v78
	v_sub_f16_e32 v82, v197, v193
	v_fma_f16 v195, v84, s12, v80
	v_fma_f16 v80, v84, s13, v80
	v_add_f16_e32 v84, v230, v197
	v_add_f16_e32 v198, v198, v97
	v_fma_f16 v97, v82, s12, v78
	v_fma_f16 v78, v82, s13, v78
	v_mul_f16_e32 v227, -0.5, v196
	v_add_f16_e32 v84, v84, v193
	v_mul_f16_e32 v193, 0x3aee, v97
	v_fma_f16 v227, v78, s13, v227
	v_fma_f16 v193, v226, 0.5, v193
	v_add_f16_e32 v230, v76, v227
	v_mul_f16_e32 v226, 0xbaee, v226
	v_mul_f16_e32 v78, -0.5, v78
	v_sub_f16_e32 v227, v76, v227
	v_add_f16_e32 v76, v199, v202
	v_add_f16_e32 v231, v77, v198
	v_fma_f16 v97, v97, 0.5, v226
	v_fma_f16 v78, v196, s12, v78
	v_sub_f16_e32 v198, v77, v198
	v_fma_f16 v76, v76, -0.5, v98
	v_sub_f16_e32 v77, v102, v106
	v_add_f16_e32 v197, v79, v193
	v_add_f16_e32 v226, v195, v97
	;; [unrolled: 1-line block ×3, first 2 shown]
	v_sub_f16_e32 v193, v79, v193
	v_sub_f16_e32 v97, v195, v97
	;; [unrolled: 1-line block ×3, first 2 shown]
	v_fma_f16 v78, v77, s13, v76
	v_fma_f16 v76, v77, s12, v76
	v_add_f16_e32 v77, v201, v102
	v_add_f16_e32 v79, v102, v106
	;; [unrolled: 1-line block ×4, first 2 shown]
	v_fma_f16 v79, v79, -0.5, v201
	v_sub_f16_e32 v80, v199, v202
	v_fma_f16 v102, v102, -0.5, v194
	v_sub_f16_e32 v106, v104, v108
	v_add_f16_e32 v82, v75, v84
	v_sub_f16_e32 v84, v75, v84
	v_add_f16_e32 v75, v98, v199
	v_fma_f16 v98, v80, s12, v79
	v_fma_f16 v79, v80, s13, v79
	v_add_f16_e32 v80, v194, v200
	v_fma_f16 v194, v106, s13, v102
	v_fma_f16 v102, v106, s12, v102
	v_add_f16_e32 v106, v100, v104
	v_add_f16_e32 v104, v104, v108
	v_fma_f16 v100, v104, -0.5, v100
	v_sub_f16_e32 v104, v200, v203
	v_add_f16_e32 v106, v106, v108
	v_fma_f16 v108, v104, s12, v100
	v_fma_f16 v100, v104, s13, v100
	v_mul_f16_e32 v201, -0.5, v102
	v_fma_f16 v201, v100, s13, v201
	v_add_f16_e32 v75, v75, v202
	v_mul_f16_e32 v199, 0x3aee, v108
	v_add_f16_e32 v202, v76, v201
	v_mul_f16_e32 v100, -0.5, v100
	v_sub_f16_e32 v201, v76, v201
	v_add_f16_e32 v76, v205, v208
	v_add_f16_e32 v80, v80, v203
	v_fma_f16 v199, v194, 0.5, v199
	v_add_f16_e32 v203, v77, v106
	v_fma_f16 v100, v102, s12, v100
	v_sub_f16_e32 v106, v77, v106
	v_fma_f16 v76, v76, -0.5, v99
	v_sub_f16_e32 v77, v103, v107
	v_add_f16_e32 v200, v78, v199
	v_mul_f16_e32 v194, 0xbaee, v194
	v_add_f16_e32 v102, v79, v100
	v_sub_f16_e32 v199, v78, v199
	v_sub_f16_e32 v100, v79, v100
	v_fma_f16 v78, v77, s13, v76
	v_fma_f16 v76, v77, s12, v76
	v_add_f16_e32 v77, v207, v103
	v_add_f16_e32 v79, v103, v107
	;; [unrolled: 1-line block ×3, first 2 shown]
	v_fma_f16 v108, v108, 0.5, v194
	v_add_f16_e32 v77, v77, v107
	v_fma_f16 v103, v103, -0.5, v204
	v_sub_f16_e32 v107, v105, v109
	v_add_f16_e32 v194, v98, v108
	v_sub_f16_e32 v98, v98, v108
	v_fma_f16 v108, v107, s13, v103
	v_fma_f16 v103, v107, s12, v103
	v_add_f16_e32 v107, v101, v105
	v_add_f16_e32 v105, v105, v109
	v_add_f16_e32 v104, v75, v80
	v_sub_f16_e32 v234, v75, v80
	v_fma_f16 v79, v79, -0.5, v207
	v_sub_f16_e32 v80, v205, v208
	v_fma_f16 v101, v105, -0.5, v101
	v_sub_f16_e32 v105, v206, v209
	v_add_f16_e32 v75, v99, v205
	v_fma_f16 v99, v80, s12, v79
	v_fma_f16 v79, v80, s13, v79
	v_add_f16_e32 v80, v204, v206
	v_add_f16_e32 v107, v107, v109
	v_fma_f16 v109, v105, s12, v101
	v_fma_f16 v101, v105, s13, v101
	v_mul_f16_e32 v206, -0.5, v103
	v_fma_f16 v206, v101, s13, v206
	v_add_f16_e32 v75, v75, v208
	v_add_f16_e32 v80, v80, v209
	v_mul_f16_e32 v204, 0x3aee, v109
	v_add_f16_e32 v207, v76, v206
	v_mul_f16_e32 v101, -0.5, v101
	v_sub_f16_e32 v206, v76, v206
	v_add_f16_e32 v76, v211, v214
	v_add_f16_e32 v105, v75, v80
	v_fma_f16 v204, v108, 0.5, v204
	v_add_f16_e32 v208, v77, v107
	v_fma_f16 v101, v103, s12, v101
	v_sub_f16_e32 v209, v75, v80
	v_sub_f16_e32 v107, v77, v107
	v_add_f16_e32 v75, v181, v211
	v_fma_f16 v76, v76, -0.5, v181
	v_sub_f16_e32 v77, v185, v189
	v_add_f16_e32 v181, v212, v215
	v_add_f16_e32 v205, v78, v204
	;; [unrolled: 1-line block ×3, first 2 shown]
	v_sub_f16_e32 v204, v78, v204
	v_sub_f16_e32 v101, v79, v101
	v_fma_f16 v78, v77, s13, v76
	v_fma_f16 v76, v77, s12, v76
	v_add_f16_e32 v77, v213, v185
	v_add_f16_e32 v79, v185, v189
	v_fma_f16 v181, v181, -0.5, v210
	v_sub_f16_e32 v185, v187, v191
	v_mul_f16_e32 v108, 0xbaee, v108
	v_add_f16_e32 v77, v77, v189
	v_fma_f16 v189, v185, s13, v181
	v_fma_f16 v181, v185, s12, v181
	v_add_f16_e32 v185, v183, v187
	v_add_f16_e32 v187, v187, v191
	v_fma_f16 v108, v109, 0.5, v108
	v_fma_f16 v79, v79, -0.5, v213
	v_sub_f16_e32 v80, v211, v214
	v_fma_f16 v183, v187, -0.5, v183
	v_sub_f16_e32 v187, v212, v215
	v_add_f16_e32 v109, v99, v108
	v_sub_f16_e32 v99, v99, v108
	v_fma_f16 v108, v80, s12, v79
	v_fma_f16 v79, v80, s13, v79
	v_add_f16_e32 v80, v210, v212
	v_add_f16_e32 v185, v185, v191
	v_fma_f16 v191, v187, s12, v183
	v_add_f16_e32 v75, v75, v214
	v_add_f16_e32 v80, v80, v215
	v_mul_f16_e32 v210, 0x3aee, v191
	v_fma_f16 v183, v187, s13, v183
	v_add_f16_e32 v187, v75, v80
	v_fma_f16 v210, v189, 0.5, v210
	v_mul_f16_e32 v212, -0.5, v181
	v_sub_f16_e32 v235, v75, v80
	v_add_f16_e32 v75, v182, v217
	v_add_f16_e32 v211, v78, v210
	v_fma_f16 v212, v183, s13, v212
	v_mul_f16_e32 v189, 0xbaee, v189
	v_mul_f16_e32 v183, -0.5, v183
	v_sub_f16_e32 v210, v78, v210
	v_add_f16_e32 v78, v75, v220
	v_add_f16_e32 v75, v217, v220
	;; [unrolled: 1-line block ×3, first 2 shown]
	v_fma_f16 v189, v191, 0.5, v189
	v_fma_f16 v181, v181, s12, v183
	v_sub_f16_e32 v212, v76, v212
	v_fma_f16 v75, v75, -0.5, v182
	v_sub_f16_e32 v76, v186, v190
	v_add_f16_e32 v191, v108, v189
	v_add_f16_e32 v215, v79, v181
	v_sub_f16_e32 v108, v108, v189
	v_sub_f16_e32 v189, v79, v181
	v_fma_f16 v79, v76, s13, v75
	v_fma_f16 v80, v76, s12, v75
	v_add_f16_e32 v75, v219, v186
	v_add_f16_e32 v214, v77, v185
	v_sub_f16_e32 v236, v77, v185
	v_add_f16_e32 v185, v75, v190
	v_add_f16_e32 v75, v186, v190
	v_fma_f16 v75, v75, -0.5, v219
	v_sub_f16_e32 v76, v217, v220
	v_fma_f16 v186, v76, s12, v75
	v_fma_f16 v190, v76, s13, v75
	v_add_f16_e32 v75, v216, v218
	v_add_f16_e32 v217, v75, v221
	;; [unrolled: 1-line block ×3, first 2 shown]
	v_fma_f16 v75, v75, -0.5, v216
	v_sub_f16_e32 v76, v188, v192
	v_fma_f16 v181, v76, s13, v75
	v_fma_f16 v216, v76, s12, v75
	v_add_f16_e32 v75, v184, v188
	v_add_f16_e32 v219, v75, v192
	;; [unrolled: 1-line block ×3, first 2 shown]
	v_fma_f16 v75, v75, -0.5, v184
	v_sub_f16_e32 v76, v218, v221
	v_fma_f16 v183, v76, s12, v75
	v_fma_f16 v184, v76, s13, v75
	v_mul_f16_e32 v76, 0x3aee, v183
	v_pack_b32_f16 v83, v83, v223
	v_fma_f16 v188, v181, 0.5, v76
	ds_write_b32 v111, v83 offset:4320
	v_pack_b32_f16 v83, v222, v96
	v_add_f16_e32 v76, v79, v188
	v_sub_f16_e32 v79, v79, v188
	v_pack_b32_f16 v188, v229, v228
	ds_write_b32 v111, v83 offset:5760
	v_pack_b32_f16 v83, v224, v110
	v_pack_b32_f16 v81, v81, v233
	ds_write_b32 v111, v188 offset:1440
	v_pack_b32_f16 v188, v232, v225
	ds_write_b32 v111, v83 offset:7200
	v_pack_b32_f16 v82, v82, v231
	v_pack_b32_f16 v83, v84, v198
	v_mul_f16_e32 v181, 0xbaee, v181
	ds_write_b32 v111, v188 offset:2880
	ds_write2_b32 v111, v81, v82 offset1:60
	v_pack_b32_f16 v81, v197, v226
	ds_write_b32 v111, v83 offset:4560
	v_pack_b32_f16 v83, v193, v97
	v_pack_b32_f16 v97, v200, v194
	v_fma_f16 v218, v183, 0.5, v181
	v_mul_f16_e32 v181, -0.5, v184
	v_pack_b32_f16 v82, v230, v196
	ds_write2_b32 v87, v81, v97 offset0:164 offset1:224
	v_pack_b32_f16 v81, v202, v102
	v_mul_f16_e32 v77, -0.5, v216
	v_fma_f16 v216, v216, s12, v181
	ds_write2_b32 v92, v82, v81 offset0:12 offset1:72
	v_pack_b32_f16 v81, v234, v106
	v_fma_f16 v192, v184, s13, v77
	v_add_f16_e32 v182, v185, v219
	v_add_f16_e32 v183, v186, v218
	;; [unrolled: 1-line block ×3, first 2 shown]
	v_sub_f16_e32 v184, v185, v219
	v_sub_f16_e32 v185, v186, v218
	;; [unrolled: 1-line block ×3, first 2 shown]
	ds_write_b32 v111, v81 offset:4800
	v_pack_b32_f16 v81, v199, v98
	v_add_u32_e32 v190, 0x1600, v111
	v_pack_b32_f16 v84, v227, v195
	ds_write2_b32 v190, v83, v81 offset0:92 offset1:152
	v_pack_b32_f16 v81, v201, v100
	v_pack_b32_f16 v96, v104, v203
	ds_write2_b32 v86, v84, v81 offset0:68 offset1:128
	v_pack_b32_f16 v81, v105, v208
	ds_write2_b32 v111, v96, v81 offset0:120 offset1:180
	v_pack_b32_f16 v81, v205, v109
	v_pack_b32_f16 v98, v211, v191
	;; [unrolled: 1-line block ×3, first 2 shown]
	ds_write2_b32 v93, v81, v98 offset0:28 offset1:88
	v_pack_b32_f16 v81, v213, v215
	v_pack_b32_f16 v83, v209, v107
	ds_write2_b32 v92, v82, v81 offset0:132 offset1:192
	v_pack_b32_f16 v81, v235, v236
	v_add_u32_e32 v191, 0x1200, v111
	v_pack_b32_f16 v84, v204, v99
	ds_write2_b32 v191, v83, v81 offset0:108 offset1:168
	v_pack_b32_f16 v81, v210, v108
	v_add_f16_e32 v75, v78, v217
	v_pack_b32_f16 v96, v206, v101
	ds_write2_b32 v91, v84, v81 offset0:84 offset1:144
	v_pack_b32_f16 v81, v212, v189
	v_pack_b32_f16 v97, v187, v214
	ds_write2_b32 v86, v96, v81 offset0:188 offset1:248
	v_pack_b32_f16 v81, v75, v182
	v_add_f16_e32 v77, v80, v192
	ds_write2_b32 v95, v97, v81 offset0:112 offset1:172
	v_pack_b32_f16 v81, v76, v183
	v_sub_f16_e32 v78, v78, v217
	ds_write_b32 v111, v81 offset:2640
	v_pack_b32_f16 v81, v77, v181
	ds_write_b32 v111, v81 offset:4080
	v_pack_b32_f16 v81, v78, v184
	v_sub_f16_e32 v80, v80, v192
	ds_write_b32 v111, v81 offset:5520
	v_pack_b32_f16 v81, v79, v185
	ds_write_b32 v111, v81 offset:6960
	v_pack_b32_f16 v81, v80, v186
	v_lshlrev_b32_e32 v104, 2, v142
	ds_write_b32 v111, v81 offset:8400
	s_waitcnt lgkmcnt(0)
	; wave barrier
	s_waitcnt lgkmcnt(0)
	global_load_dword v98, v104, s[2:3]
	global_load_dword v102, v104, s[2:3] offset:864
	global_load_dword v105, v104, s[2:3] offset:1728
	;; [unrolled: 1-line block ×4, first 2 shown]
	v_mov_b32_e32 v82, s3
	v_add_co_u32_e32 v81, vcc, s2, v104
	v_addc_co_u32_e32 v82, vcc, 0, v82, vcc
	v_add_co_u32_e32 v83, vcc, s4, v81
	v_addc_co_u32_e32 v84, vcc, 0, v82, vcc
	global_load_dword v108, v[83:84], off offset:224
	global_load_dword v109, v[83:84], off offset:1088
	;; [unrolled: 1-line block ×3, first 2 shown]
	ds_read2_b32 v[96:97], v111 offset1:60
	global_load_dword v189, v104, s[2:3] offset:240
	global_load_dword v192, v104, s[2:3] offset:1104
	;; [unrolled: 1-line block ×4, first 2 shown]
	global_load_dword v187, v85, s[2:3]
	s_waitcnt lgkmcnt(0)
	v_lshrrev_b32_e32 v85, 16, v96
	s_waitcnt vmcnt(12)
	v_mul_f16_sdwa v99, v85, v98 dst_sel:DWORD dst_unused:UNUSED_PAD src0_sel:DWORD src1_sel:WORD_1
	v_fma_f16 v99, v96, v98, -v99
	v_mul_f16_sdwa v96, v96, v98 dst_sel:DWORD dst_unused:UNUSED_PAD src0_sel:DWORD src1_sel:WORD_1
	v_fma_f16 v85, v85, v98, v96
	global_load_dword v96, v[83:84], off offset:3680
	v_pack_b32_f16 v85, v99, v85
	ds_write_b32 v111, v85
	ds_read2_b32 v[98:99], v111 offset0:120 offset1:216
	ds_read2_b32 v[100:101], v87 offset0:176 offset1:236
	s_waitcnt lgkmcnt(1)
	v_lshrrev_b32_e32 v85, 16, v99
	s_waitcnt vmcnt(12)
	v_mul_f16_sdwa v103, v85, v102 dst_sel:DWORD dst_unused:UNUSED_PAD src0_sel:DWORD src1_sel:WORD_1
	v_fma_f16 v103, v99, v102, -v103
	v_mul_f16_sdwa v99, v99, v102 dst_sel:DWORD dst_unused:UNUSED_PAD src0_sel:DWORD src1_sel:WORD_1
	v_fma_f16 v85, v85, v102, v99
	v_pack_b32_f16 v195, v103, v85
	ds_read2_b32 v[102:103], v93 offset0:40 offset1:136
	global_load_dword v197, v104, s[2:3] offset:1968
	global_load_dword v198, v104, s[2:3] offset:2832
	;; [unrolled: 1-line block ×6, first 2 shown]
	s_waitcnt lgkmcnt(1)
	v_lshrrev_b32_e32 v85, 16, v100
	s_waitcnt vmcnt(17)
	v_mul_f16_sdwa v99, v85, v105 dst_sel:DWORD dst_unused:UNUSED_PAD src0_sel:DWORD src1_sel:WORD_1
	v_fma_f16 v99, v100, v105, -v99
	v_mul_f16_sdwa v100, v100, v105 dst_sel:DWORD dst_unused:UNUSED_PAD src0_sel:DWORD src1_sel:WORD_1
	v_fma_f16 v85, v85, v105, v100
	v_pack_b32_f16 v196, v99, v85
	s_waitcnt lgkmcnt(0)
	v_lshrrev_b32_e32 v85, 16, v103
	s_waitcnt vmcnt(16)
	v_mul_f16_sdwa v104, v85, v106 dst_sel:DWORD dst_unused:UNUSED_PAD src0_sel:DWORD src1_sel:WORD_1
	v_fma_f16 v104, v103, v106, -v104
	v_mul_f16_sdwa v103, v103, v106 dst_sel:DWORD dst_unused:UNUSED_PAD src0_sel:DWORD src1_sel:WORD_1
	v_fma_f16 v85, v85, v106, v103
	v_pack_b32_f16 v203, v104, v85
	v_add_u32_e32 v85, 0xe00, v111
	ds_read2_b32 v[99:100], v92 offset0:96 offset1:156
	ds_read2_b32 v[103:104], v85 offset0:88 offset1:184
	global_load_dword v205, v[83:84], off offset:464
	global_load_dword v206, v[83:84], off offset:1328
	;; [unrolled: 1-line block ×7, first 2 shown]
	s_waitcnt lgkmcnt(1)
	v_lshrrev_b32_e32 v105, 16, v99
	s_waitcnt vmcnt(22)
	v_mul_f16_sdwa v106, v105, v107 dst_sel:DWORD dst_unused:UNUSED_PAD src0_sel:DWORD src1_sel:WORD_1
	v_fma_f16 v106, v99, v107, -v106
	v_mul_f16_sdwa v99, v99, v107 dst_sel:DWORD dst_unused:UNUSED_PAD src0_sel:DWORD src1_sel:WORD_1
	v_fma_f16 v99, v105, v107, v99
	v_pack_b32_f16 v204, v106, v99
	s_waitcnt lgkmcnt(0)
	v_lshrrev_b32_e32 v99, 16, v104
	s_waitcnt vmcnt(21)
	v_mul_f16_sdwa v107, v99, v108 dst_sel:DWORD dst_unused:UNUSED_PAD src0_sel:DWORD src1_sel:WORD_1
	ds_read2_b32 v[105:106], v90 offset0:16 offset1:76
	v_fma_f16 v107, v104, v108, -v107
	v_mul_f16_sdwa v104, v104, v108 dst_sel:DWORD dst_unused:UNUSED_PAD src0_sel:DWORD src1_sel:WORD_1
	v_fma_f16 v99, v99, v108, v104
	v_pack_b32_f16 v99, v107, v99
	ds_read2_b32 v[107:108], v90 offset0:136 offset1:232
	s_waitcnt lgkmcnt(1)
	v_lshrrev_b32_e32 v104, 16, v105
	s_waitcnt vmcnt(20)
	v_mul_f16_sdwa v188, v104, v109 dst_sel:DWORD dst_unused:UNUSED_PAD src0_sel:DWORD src1_sel:WORD_1
	v_fma_f16 v188, v105, v109, -v188
	v_mul_f16_sdwa v105, v105, v109 dst_sel:DWORD dst_unused:UNUSED_PAD src0_sel:DWORD src1_sel:WORD_1
	v_fma_f16 v104, v104, v109, v105
	s_waitcnt lgkmcnt(0)
	v_lshrrev_b32_e32 v109, 16, v108
	v_pack_b32_f16 v210, v188, v104
	s_waitcnt vmcnt(19)
	v_mul_f16_sdwa v104, v109, v110 dst_sel:DWORD dst_unused:UNUSED_PAD src0_sel:DWORD src1_sel:WORD_1
	v_fma_f16 v188, v108, v110, -v104
	ds_read2_b32 v[104:105], v91 offset0:192 offset1:252
	v_mul_f16_sdwa v108, v108, v110 dst_sel:DWORD dst_unused:UNUSED_PAD src0_sel:DWORD src1_sel:WORD_1
	v_fma_f16 v108, v109, v110, v108
	v_pack_b32_f16 v211, v188, v108
	s_waitcnt lgkmcnt(0)
	v_lshrrev_b32_e32 v110, 16, v104
	s_waitcnt vmcnt(14)
	v_mul_f16_sdwa v108, v110, v187 dst_sel:DWORD dst_unused:UNUSED_PAD src0_sel:DWORD src1_sel:WORD_1
	v_fma_f16 v188, v104, v187, -v108
	ds_read2_b32 v[108:109], v86 offset0:56 offset1:152
	v_mul_f16_sdwa v104, v104, v187 dst_sel:DWORD dst_unused:UNUSED_PAD src0_sel:DWORD src1_sel:WORD_1
	v_fma_f16 v104, v110, v187, v104
	v_add_co_u32_e32 v187, vcc, 0x2000, v81
	v_pack_b32_f16 v104, v188, v104
	s_waitcnt lgkmcnt(0)
	v_lshrrev_b32_e32 v110, 16, v109
	v_addc_co_u32_e32 v188, vcc, 0, v82, vcc
	global_load_dword v214, v[187:188], off offset:64
	global_load_dword v215, v[83:84], off offset:3296
	s_waitcnt vmcnt(15)
	v_mul_f16_sdwa v187, v110, v96 dst_sel:DWORD dst_unused:UNUSED_PAD src0_sel:DWORD src1_sel:WORD_1
	v_fma_f16 v187, v109, v96, -v187
	v_mul_f16_sdwa v109, v109, v96 dst_sel:DWORD dst_unused:UNUSED_PAD src0_sel:DWORD src1_sel:WORD_1
	v_fma_f16 v96, v110, v96, v109
	ds_read2_b32 v[109:110], v87 offset0:20 offset1:80
	v_pack_b32_f16 v216, v187, v96
	v_lshrrev_b32_e32 v96, 16, v97
	v_mul_f16_sdwa v187, v96, v189 dst_sel:DWORD dst_unused:UNUSED_PAD src0_sel:DWORD src1_sel:WORD_1
	v_fma_f16 v187, v97, v189, -v187
	v_mul_f16_sdwa v97, v97, v189 dst_sel:DWORD dst_unused:UNUSED_PAD src0_sel:DWORD src1_sel:WORD_1
	v_fma_f16 v96, v96, v189, v97
	v_pack_b32_f16 v97, v187, v96
	s_waitcnt lgkmcnt(0)
	v_lshrrev_b32_e32 v96, 16, v109
	v_mul_f16_sdwa v187, v96, v192 dst_sel:DWORD dst_unused:UNUSED_PAD src0_sel:DWORD src1_sel:WORD_1
	v_fma_f16 v187, v109, v192, -v187
	v_mul_f16_sdwa v109, v109, v192 dst_sel:DWORD dst_unused:UNUSED_PAD src0_sel:DWORD src1_sel:WORD_1
	v_fma_f16 v96, v96, v192, v109
	v_pack_b32_f16 v96, v187, v96
	ds_write2_b32 v95, v195, v96 offset0:88 offset1:148
	ds_read2_b32 v[95:96], v88 offset0:68 offset1:128
	v_lshrrev_b32_e32 v109, 16, v101
	s_waitcnt vmcnt(14)
	v_mul_f16_sdwa v187, v109, v197 dst_sel:DWORD dst_unused:UNUSED_PAD src0_sel:DWORD src1_sel:WORD_1
	v_fma_f16 v187, v101, v197, -v187
	v_mul_f16_sdwa v101, v101, v197 dst_sel:DWORD dst_unused:UNUSED_PAD src0_sel:DWORD src1_sel:WORD_1
	v_fma_f16 v101, v109, v197, v101
	s_waitcnt lgkmcnt(0)
	v_lshrrev_b32_e32 v109, 16, v95
	v_pack_b32_f16 v101, v187, v101
	s_waitcnt vmcnt(13)
	v_mul_f16_sdwa v187, v109, v198 dst_sel:DWORD dst_unused:UNUSED_PAD src0_sel:DWORD src1_sel:WORD_1
	v_fma_f16 v187, v95, v198, -v187
	v_mul_f16_sdwa v95, v95, v198 dst_sel:DWORD dst_unused:UNUSED_PAD src0_sel:DWORD src1_sel:WORD_1
	v_fma_f16 v95, v109, v198, v95
	v_pack_b32_f16 v95, v187, v95
	ds_read2_b32 v[187:188], v89 offset0:116 offset1:176
	ds_write2_b32 v93, v203, v95 offset0:136 offset1:196
	v_lshrrev_b32_e32 v95, 16, v100
	s_waitcnt vmcnt(12)
	v_mul_f16_sdwa v109, v95, v199 dst_sel:DWORD dst_unused:UNUSED_PAD src0_sel:DWORD src1_sel:WORD_1
	v_fma_f16 v109, v100, v199, -v109
	v_mul_f16_sdwa v100, v100, v199 dst_sel:DWORD dst_unused:UNUSED_PAD src0_sel:DWORD src1_sel:WORD_1
	v_fma_f16 v95, v95, v199, v100
	s_waitcnt lgkmcnt(1)
	v_lshrrev_b32_e32 v100, 16, v187
	v_pack_b32_f16 v95, v109, v95
	s_waitcnt vmcnt(8)
	v_mul_f16_sdwa v109, v100, v205 dst_sel:DWORD dst_unused:UNUSED_PAD src0_sel:DWORD src1_sel:WORD_1
	v_fma_f16 v109, v187, v205, -v109
	v_mul_f16_sdwa v187, v187, v205 dst_sel:DWORD dst_unused:UNUSED_PAD src0_sel:DWORD src1_sel:WORD_1
	v_fma_f16 v100, v100, v205, v187
	v_pack_b32_f16 v100, v109, v100
	global_load_dword v109, v[83:84], off offset:2432
	ds_write2_b32 v89, v99, v100 offset0:56 offset1:116
	ds_read2_b32 v[99:100], v91 offset0:36 offset1:96
	v_lshrrev_b32_e32 v187, 16, v106
	s_waitcnt vmcnt(8)
	v_mul_f16_sdwa v189, v187, v206 dst_sel:DWORD dst_unused:UNUSED_PAD src0_sel:DWORD src1_sel:WORD_1
	v_fma_f16 v189, v106, v206, -v189
	v_mul_f16_sdwa v106, v106, v206 dst_sel:DWORD dst_unused:UNUSED_PAD src0_sel:DWORD src1_sel:WORD_1
	v_fma_f16 v106, v187, v206, v106
	s_waitcnt lgkmcnt(0)
	v_lshrrev_b32_e32 v187, 16, v99
	v_pack_b32_f16 v106, v189, v106
	s_waitcnt vmcnt(7)
	v_mul_f16_sdwa v189, v187, v207 dst_sel:DWORD dst_unused:UNUSED_PAD src0_sel:DWORD src1_sel:WORD_1
	v_fma_f16 v189, v99, v207, -v189
	v_mul_f16_sdwa v99, v99, v207 dst_sel:DWORD dst_unused:UNUSED_PAD src0_sel:DWORD src1_sel:WORD_1
	v_fma_f16 v99, v187, v207, v99
	v_pack_b32_f16 v99, v189, v99
	ds_write2_b32 v190, v211, v99 offset0:104 offset1:164
	ds_read2_b32 v[189:190], v180 offset0:84 offset1:144
	v_lshrrev_b32_e32 v99, 16, v105
	s_waitcnt vmcnt(4)
	v_mul_f16_sdwa v187, v99, v212 dst_sel:DWORD dst_unused:UNUSED_PAD src0_sel:DWORD src1_sel:WORD_1
	v_fma_f16 v187, v105, v212, -v187
	v_mul_f16_sdwa v105, v105, v212 dst_sel:DWORD dst_unused:UNUSED_PAD src0_sel:DWORD src1_sel:WORD_1
	v_fma_f16 v99, v99, v212, v105
	s_waitcnt lgkmcnt(0)
	v_lshrrev_b32_e32 v105, 16, v189
	v_pack_b32_f16 v99, v187, v99
	s_waitcnt vmcnt(3)
	v_mul_f16_sdwa v187, v105, v213 dst_sel:DWORD dst_unused:UNUSED_PAD src0_sel:DWORD src1_sel:WORD_1
	v_fma_f16 v187, v189, v213, -v187
	v_mul_f16_sdwa v189, v189, v213 dst_sel:DWORD dst_unused:UNUSED_PAD src0_sel:DWORD src1_sel:WORD_1
	v_fma_f16 v105, v105, v213, v189
	v_pack_b32_f16 v105, v187, v105
	ds_write2_b32 v86, v216, v105 offset0:152 offset1:212
	v_lshrrev_b32_e32 v105, 16, v98
	v_mul_f16_sdwa v187, v105, v194 dst_sel:DWORD dst_unused:UNUSED_PAD src0_sel:DWORD src1_sel:WORD_1
	v_fma_f16 v187, v98, v194, -v187
	v_mul_f16_sdwa v98, v98, v194 dst_sel:DWORD dst_unused:UNUSED_PAD src0_sel:DWORD src1_sel:WORD_1
	v_fma_f16 v98, v105, v194, v98
	v_pack_b32_f16 v98, v187, v98
	ds_write2_b32 v111, v97, v98 offset0:60 offset1:120
	v_lshrrev_b32_e32 v97, 16, v110
	v_mul_f16_sdwa v98, v97, v193 dst_sel:DWORD dst_unused:UNUSED_PAD src0_sel:DWORD src1_sel:WORD_1
	v_mul_f16_sdwa v105, v110, v193 dst_sel:DWORD dst_unused:UNUSED_PAD src0_sel:DWORD src1_sel:WORD_1
	v_fma_f16 v98, v110, v193, -v98
	v_fma_f16 v97, v97, v193, v105
	v_pack_b32_f16 v97, v98, v97
	ds_write2_b32 v87, v97, v196 offset0:80 offset1:176
	v_lshrrev_b32_e32 v97, 16, v102
	v_mul_f16_sdwa v98, v97, v202 dst_sel:DWORD dst_unused:UNUSED_PAD src0_sel:DWORD src1_sel:WORD_1
	v_fma_f16 v98, v102, v202, -v98
	v_mul_f16_sdwa v102, v102, v202 dst_sel:DWORD dst_unused:UNUSED_PAD src0_sel:DWORD src1_sel:WORD_1
	v_fma_f16 v97, v97, v202, v102
	v_pack_b32_f16 v97, v98, v97
	ds_write2_b32 v94, v101, v97 offset0:108 offset1:168
	v_lshrrev_b32_e32 v94, 16, v96
	v_mul_f16_sdwa v97, v94, v201 dst_sel:DWORD dst_unused:UNUSED_PAD src0_sel:DWORD src1_sel:WORD_1
	v_fma_f16 v97, v96, v201, -v97
	v_mul_f16_sdwa v96, v96, v201 dst_sel:DWORD dst_unused:UNUSED_PAD src0_sel:DWORD src1_sel:WORD_1
	v_fma_f16 v94, v94, v201, v96
	v_pack_b32_f16 v94, v97, v94
	ds_write2_b32 v92, v94, v204 offset1:96
	v_lshrrev_b32_e32 v94, 16, v103
	v_mul_f16_sdwa v96, v94, v200 dst_sel:DWORD dst_unused:UNUSED_PAD src0_sel:DWORD src1_sel:WORD_1
	v_mul_f16_sdwa v97, v103, v200 dst_sel:DWORD dst_unused:UNUSED_PAD src0_sel:DWORD src1_sel:WORD_1
	v_fma_f16 v96, v103, v200, -v96
	v_fma_f16 v94, v94, v200, v97
	v_pack_b32_f16 v94, v96, v94
	ds_write2_b32 v92, v95, v94 offset0:156 offset1:216
	v_lshrrev_b32_e32 v94, 16, v188
	v_mul_f16_sdwa v95, v94, v209 dst_sel:DWORD dst_unused:UNUSED_PAD src0_sel:DWORD src1_sel:WORD_1
	v_mul_f16_sdwa v96, v188, v209 dst_sel:DWORD dst_unused:UNUSED_PAD src0_sel:DWORD src1_sel:WORD_1
	v_fma_f16 v95, v188, v209, -v95
	v_fma_f16 v94, v94, v209, v96
	v_pack_b32_f16 v94, v95, v94
	ds_write2_b32 v191, v94, v210 offset0:48 offset1:144
	;; [unrolled: 7-line block ×3, first 2 shown]
	v_lshrrev_b32_e32 v94, 16, v100
	s_waitcnt vmcnt(0)
	v_mul_f16_sdwa v95, v94, v109 dst_sel:DWORD dst_unused:UNUSED_PAD src0_sel:DWORD src1_sel:WORD_1
	v_mul_f16_sdwa v96, v100, v109 dst_sel:DWORD dst_unused:UNUSED_PAD src0_sel:DWORD src1_sel:WORD_1
	v_fma_f16 v95, v100, v109, -v95
	v_fma_f16 v94, v94, v109, v96
	v_pack_b32_f16 v94, v95, v94
	ds_write2_b32 v91, v94, v104 offset0:96 offset1:192
	v_lshrrev_b32_e32 v94, 16, v108
	v_mul_f16_sdwa v95, v94, v215 dst_sel:DWORD dst_unused:UNUSED_PAD src0_sel:DWORD src1_sel:WORD_1
	v_mul_f16_sdwa v96, v108, v215 dst_sel:DWORD dst_unused:UNUSED_PAD src0_sel:DWORD src1_sel:WORD_1
	v_fma_f16 v95, v108, v215, -v95
	v_fma_f16 v94, v94, v215, v96
	v_pack_b32_f16 v94, v95, v94
	v_add_u32_e32 v95, 0x1a00, v111
	ds_write2_b32 v95, v99, v94 offset0:124 offset1:184
	v_lshrrev_b32_e32 v94, 16, v190
	v_mul_f16_sdwa v95, v94, v214 dst_sel:DWORD dst_unused:UNUSED_PAD src0_sel:DWORD src1_sel:WORD_1
	v_mul_f16_sdwa v96, v190, v214 dst_sel:DWORD dst_unused:UNUSED_PAD src0_sel:DWORD src1_sel:WORD_1
	v_fma_f16 v95, v190, v214, -v95
	v_fma_f16 v94, v94, v214, v96
	v_pack_b32_f16 v94, v95, v94
	ds_write_b32 v111, v94 offset:8256
	s_and_saveexec_b64 s[2:3], s[0:1]
	s_cbranch_execz .LBB0_9
; %bb.8:
	global_load_dword v94, v[81:82], off offset:720
	global_load_dword v95, v[81:82], off offset:1584
	;; [unrolled: 1-line block ×9, first 2 shown]
	v_add_co_u32_e32 v81, vcc, 0x2000, v81
	v_addc_co_u32_e32 v82, vcc, 0, v82, vcc
	global_load_dword v103, v[81:82], off offset:304
	v_add_u32_e32 v83, 0x280, v111
	ds_read2_b32 v[81:82], v83 offset0:20 offset1:236
	v_add_u32_e32 v84, 0x900, v111
	s_waitcnt lgkmcnt(0)
	v_lshrrev_b32_e32 v104, 16, v81
	v_lshrrev_b32_e32 v105, 16, v82
	s_waitcnt vmcnt(9)
	v_mul_f16_sdwa v106, v104, v94 dst_sel:DWORD dst_unused:UNUSED_PAD src0_sel:DWORD src1_sel:WORD_1
	v_mul_f16_sdwa v107, v81, v94 dst_sel:DWORD dst_unused:UNUSED_PAD src0_sel:DWORD src1_sel:WORD_1
	s_waitcnt vmcnt(8)
	v_mul_f16_sdwa v108, v105, v95 dst_sel:DWORD dst_unused:UNUSED_PAD src0_sel:DWORD src1_sel:WORD_1
	v_mul_f16_sdwa v109, v82, v95 dst_sel:DWORD dst_unused:UNUSED_PAD src0_sel:DWORD src1_sel:WORD_1
	v_fma_f16 v81, v81, v94, -v106
	v_fma_f16 v94, v104, v94, v107
	v_fma_f16 v82, v82, v95, -v108
	v_fma_f16 v95, v105, v95, v109
	v_pack_b32_f16 v81, v81, v94
	v_pack_b32_f16 v82, v82, v95
	ds_write2_b32 v83, v81, v82 offset0:20 offset1:236
	ds_read2_b32 v[81:82], v84 offset0:36 offset1:252
	s_waitcnt lgkmcnt(0)
	v_lshrrev_b32_e32 v83, 16, v81
	s_waitcnt vmcnt(7)
	v_mul_f16_sdwa v94, v81, v96 dst_sel:DWORD dst_unused:UNUSED_PAD src0_sel:DWORD src1_sel:WORD_1
	v_lshrrev_b32_e32 v95, 16, v82
	s_waitcnt vmcnt(6)
	v_mul_f16_sdwa v104, v82, v97 dst_sel:DWORD dst_unused:UNUSED_PAD src0_sel:DWORD src1_sel:WORD_1
	v_mul_f16_sdwa v105, v83, v96 dst_sel:DWORD dst_unused:UNUSED_PAD src0_sel:DWORD src1_sel:WORD_1
	v_fma_f16 v83, v83, v96, v94
	v_mul_f16_sdwa v94, v95, v97 dst_sel:DWORD dst_unused:UNUSED_PAD src0_sel:DWORD src1_sel:WORD_1
	v_fma_f16 v95, v95, v97, v104
	v_fma_f16 v81, v81, v96, -v105
	v_fma_f16 v82, v82, v97, -v94
	v_pack_b32_f16 v81, v81, v83
	v_pack_b32_f16 v82, v82, v95
	ds_write2_b32 v84, v81, v82 offset0:36 offset1:252
	ds_read2_b32 v[81:82], v89 offset0:20 offset1:236
	v_add_u32_e32 v94, 0x1700, v111
	s_waitcnt lgkmcnt(0)
	v_lshrrev_b32_e32 v83, 16, v81
	s_waitcnt vmcnt(5)
	v_mul_f16_sdwa v84, v81, v98 dst_sel:DWORD dst_unused:UNUSED_PAD src0_sel:DWORD src1_sel:WORD_1
	v_lshrrev_b32_e32 v95, 16, v82
	s_waitcnt vmcnt(4)
	v_mul_f16_sdwa v96, v82, v99 dst_sel:DWORD dst_unused:UNUSED_PAD src0_sel:DWORD src1_sel:WORD_1
	v_mul_f16_sdwa v97, v83, v98 dst_sel:DWORD dst_unused:UNUSED_PAD src0_sel:DWORD src1_sel:WORD_1
	v_fma_f16 v83, v83, v98, v84
	v_mul_f16_sdwa v84, v95, v99 dst_sel:DWORD dst_unused:UNUSED_PAD src0_sel:DWORD src1_sel:WORD_1
	v_fma_f16 v95, v95, v99, v96
	v_fma_f16 v81, v81, v98, -v97
	v_fma_f16 v82, v82, v99, -v84
	v_pack_b32_f16 v81, v81, v83
	v_pack_b32_f16 v82, v82, v95
	ds_write2_b32 v89, v81, v82 offset0:20 offset1:236
	ds_read2_b32 v[81:82], v94 offset0:4 offset1:220
	v_add_u32_e32 v95, 0x1d80, v111
	ds_read2_b32 v[83:84], v95 offset0:20 offset1:236
	s_waitcnt lgkmcnt(1)
	v_lshrrev_b32_e32 v96, 16, v81
	s_waitcnt vmcnt(3)
	v_mul_f16_sdwa v97, v81, v100 dst_sel:DWORD dst_unused:UNUSED_PAD src0_sel:DWORD src1_sel:WORD_1
	v_lshrrev_b32_e32 v98, 16, v82
	s_waitcnt vmcnt(2)
	v_mul_f16_sdwa v99, v82, v101 dst_sel:DWORD dst_unused:UNUSED_PAD src0_sel:DWORD src1_sel:WORD_1
	s_waitcnt lgkmcnt(0)
	v_lshrrev_b32_e32 v104, 16, v83
	s_waitcnt vmcnt(1)
	v_mul_f16_sdwa v105, v83, v102 dst_sel:DWORD dst_unused:UNUSED_PAD src0_sel:DWORD src1_sel:WORD_1
	v_lshrrev_b32_e32 v106, 16, v84
	v_mul_f16_sdwa v108, v96, v100 dst_sel:DWORD dst_unused:UNUSED_PAD src0_sel:DWORD src1_sel:WORD_1
	v_fma_f16 v96, v96, v100, v97
	v_mul_f16_sdwa v97, v98, v101 dst_sel:DWORD dst_unused:UNUSED_PAD src0_sel:DWORD src1_sel:WORD_1
	s_waitcnt vmcnt(0)
	v_mul_f16_sdwa v107, v84, v103 dst_sel:DWORD dst_unused:UNUSED_PAD src0_sel:DWORD src1_sel:WORD_1
	v_fma_f16 v98, v98, v101, v99
	v_mul_f16_sdwa v99, v104, v102 dst_sel:DWORD dst_unused:UNUSED_PAD src0_sel:DWORD src1_sel:WORD_1
	v_fma_f16 v104, v104, v102, v105
	v_mul_f16_sdwa v105, v106, v103 dst_sel:DWORD dst_unused:UNUSED_PAD src0_sel:DWORD src1_sel:WORD_1
	v_fma_f16 v81, v81, v100, -v108
	v_fma_f16 v82, v82, v101, -v97
	v_fma_f16 v106, v106, v103, v107
	v_fma_f16 v83, v83, v102, -v99
	v_fma_f16 v84, v84, v103, -v105
	v_pack_b32_f16 v81, v81, v96
	v_pack_b32_f16 v82, v82, v98
	;; [unrolled: 1-line block ×4, first 2 shown]
	ds_write2_b32 v94, v81, v82 offset0:4 offset1:220
	ds_write2_b32 v95, v83, v84 offset0:20 offset1:236
.LBB0_9:
	s_or_b64 exec, exec, s[2:3]
	s_waitcnt lgkmcnt(0)
	; wave barrier
	s_waitcnt lgkmcnt(0)
	ds_read2_b32 v[109:110], v111 offset1:60
	ds_read2_b32 v[105:106], v111 offset0:120 offset1:216
	ds_read2_b32 v[107:108], v87 offset0:176 offset1:236
	;; [unrolled: 1-line block ×14, first 2 shown]
	s_and_saveexec_b64 s[2:3], s[0:1]
	s_cbranch_execz .LBB0_11
; %bb.10:
	v_add_u32_e32 v71, 0x280, v111
	ds_read2_b32 v[75:76], v71 offset0:20 offset1:236
	v_add_u32_e32 v71, 0x900, v111
	ds_read2_b32 v[77:78], v71 offset0:36 offset1:252
	;; [unrolled: 2-line block ×3, first 2 shown]
	v_add_u32_e32 v71, 0x1700, v111
	v_add_u32_e32 v73, 0x1d80, v111
	ds_read2_b32 v[71:72], v71 offset0:4 offset1:220
	ds_read2_b32 v[73:74], v73 offset0:20 offset1:236
	s_waitcnt lgkmcnt(4)
	v_lshrrev_b32_e32 v182, 16, v75
	v_lshrrev_b32_e32 v183, 16, v76
	s_waitcnt lgkmcnt(3)
	v_lshrrev_b32_e32 v181, 16, v77
	v_lshrrev_b32_e32 v184, 16, v78
	;; [unrolled: 3-line block ×5, first 2 shown]
.LBB0_11:
	s_or_b64 exec, exec, s[2:3]
	s_waitcnt lgkmcnt(8)
	v_add_f16_e32 v187, v93, v95
	v_fma_f16 v187, v187, -0.5, v109
	s_waitcnt lgkmcnt(6)
	v_sub_f16_sdwa v188, v107, v97 dst_sel:DWORD dst_unused:UNUSED_PAD src0_sel:WORD_1 src1_sel:WORD_1
	s_mov_b32 s4, 0xbb9c
	s_movk_i32 s13, 0x3b9c
	v_fma_f16 v189, v188, s4, v187
	v_sub_f16_sdwa v190, v93, v95 dst_sel:DWORD dst_unused:UNUSED_PAD src0_sel:WORD_1 src1_sel:WORD_1
	s_mov_b32 s5, 0xb8b4
	v_sub_f16_e32 v191, v97, v95
	v_sub_f16_e32 v192, v107, v93
	v_fma_f16 v187, v188, s13, v187
	s_movk_i32 s14, 0x38b4
	v_fma_f16 v189, v190, s5, v189
	v_add_f16_e32 v191, v192, v191
	s_movk_i32 s12, 0x34f2
	v_fma_f16 v187, v190, s14, v187
	v_fma_f16 v189, v191, s12, v189
	;; [unrolled: 1-line block ×3, first 2 shown]
	v_add_f16_e32 v191, v107, v97
	v_fma_f16 v191, v191, -0.5, v109
	v_fma_f16 v192, v190, s13, v191
	v_fma_f16 v190, v190, s4, v191
	v_pk_add_f16 v180, v109, v107
	v_fma_f16 v192, v188, s5, v192
	v_sub_f16_e32 v193, v95, v97
	v_sub_f16_e32 v194, v93, v107
	v_fma_f16 v188, v188, s14, v190
	v_add_f16_sdwa v190, v93, v95 dst_sel:DWORD dst_unused:UNUSED_PAD src0_sel:WORD_1 src1_sel:WORD_1
	v_lshrrev_b32_e32 v109, 16, v109
	v_add_f16_e32 v193, v194, v193
	v_fma_f16 v190, v190, -0.5, v109
	v_sub_f16_e32 v191, v107, v97
	v_fma_f16 v192, v193, s12, v192
	v_fma_f16 v188, v193, s12, v188
	;; [unrolled: 1-line block ×3, first 2 shown]
	v_sub_f16_e32 v194, v93, v95
	v_sub_f16_sdwa v195, v107, v93 dst_sel:DWORD dst_unused:UNUSED_PAD src0_sel:WORD_1 src1_sel:WORD_1
	v_sub_f16_sdwa v196, v97, v95 dst_sel:DWORD dst_unused:UNUSED_PAD src0_sel:WORD_1 src1_sel:WORD_1
	v_fma_f16 v190, v191, s4, v190
	v_fma_f16 v193, v194, s14, v193
	v_add_f16_e32 v195, v195, v196
	v_fma_f16 v190, v194, s5, v190
	v_fma_f16 v193, v195, s12, v193
	;; [unrolled: 1-line block ×3, first 2 shown]
	v_add_f16_sdwa v195, v107, v97 dst_sel:DWORD dst_unused:UNUSED_PAD src0_sel:WORD_1 src1_sel:WORD_1
	v_fma_f16 v109, v195, -0.5, v109
	v_fma_f16 v195, v194, s4, v109
	v_fma_f16 v109, v194, s13, v109
	v_fma_f16 v195, v191, s14, v195
	v_fma_f16 v109, v191, s5, v109
	v_add_f16_e32 v191, v82, v84
	v_sub_f16_sdwa v107, v93, v107 dst_sel:DWORD dst_unused:UNUSED_PAD src0_sel:WORD_1 src1_sel:WORD_1
	v_sub_f16_sdwa v196, v95, v97 dst_sel:DWORD dst_unused:UNUSED_PAD src0_sel:WORD_1 src1_sel:WORD_1
	v_fma_f16 v191, v191, -0.5, v106
	s_waitcnt lgkmcnt(5)
	v_sub_f16_sdwa v194, v104, v86 dst_sel:DWORD dst_unused:UNUSED_PAD src0_sel:WORD_1 src1_sel:WORD_1
	v_add_f16_e32 v107, v107, v196
	v_fma_f16 v196, v194, s4, v191
	v_sub_f16_sdwa v197, v82, v84 dst_sel:DWORD dst_unused:UNUSED_PAD src0_sel:WORD_1 src1_sel:WORD_1
	v_sub_f16_e32 v198, v86, v84
	v_sub_f16_e32 v199, v104, v82
	v_fma_f16 v191, v194, s13, v191
	v_fma_f16 v196, v197, s5, v196
	v_add_f16_e32 v198, v199, v198
	v_fma_f16 v191, v197, s14, v191
	v_fma_f16 v196, v198, s12, v196
	;; [unrolled: 1-line block ×3, first 2 shown]
	v_add_f16_e32 v198, v104, v86
	v_fma_f16 v198, v198, -0.5, v106
	v_fma_f16 v199, v197, s13, v198
	v_fma_f16 v197, v197, s4, v198
	;; [unrolled: 1-line block ×4, first 2 shown]
	v_pk_add_f16 v109, v106, v104
	v_fma_f16 v199, v194, s5, v199
	v_sub_f16_e32 v200, v84, v86
	v_sub_f16_e32 v201, v82, v104
	v_fma_f16 v194, v194, s14, v197
	v_add_f16_sdwa v197, v82, v84 dst_sel:DWORD dst_unused:UNUSED_PAD src0_sel:WORD_1 src1_sel:WORD_1
	v_lshrrev_b32_e32 v106, 16, v106
	v_add_f16_e32 v200, v201, v200
	v_fma_f16 v197, v197, -0.5, v106
	v_sub_f16_e32 v198, v104, v86
	v_fma_f16 v199, v200, s12, v199
	v_fma_f16 v194, v200, s12, v194
	;; [unrolled: 1-line block ×3, first 2 shown]
	v_sub_f16_e32 v201, v82, v84
	v_sub_f16_sdwa v202, v104, v82 dst_sel:DWORD dst_unused:UNUSED_PAD src0_sel:WORD_1 src1_sel:WORD_1
	v_sub_f16_sdwa v203, v86, v84 dst_sel:DWORD dst_unused:UNUSED_PAD src0_sel:WORD_1 src1_sel:WORD_1
	v_fma_f16 v197, v198, s4, v197
	v_fma_f16 v200, v201, s14, v200
	v_add_f16_e32 v202, v202, v203
	v_fma_f16 v197, v201, s5, v197
	v_fma_f16 v200, v202, s12, v200
	;; [unrolled: 1-line block ×3, first 2 shown]
	v_add_f16_sdwa v202, v104, v86 dst_sel:DWORD dst_unused:UNUSED_PAD src0_sel:WORD_1 src1_sel:WORD_1
	v_fma_f16 v106, v202, -0.5, v106
	v_fma_f16 v202, v201, s4, v106
	v_sub_f16_sdwa v104, v82, v104 dst_sel:DWORD dst_unused:UNUSED_PAD src0_sel:WORD_1 src1_sel:WORD_1
	v_sub_f16_sdwa v203, v84, v86 dst_sel:DWORD dst_unused:UNUSED_PAD src0_sel:WORD_1 src1_sel:WORD_1
	v_fma_f16 v106, v201, s13, v106
	v_fma_f16 v202, v198, s14, v202
	v_add_f16_e32 v104, v104, v203
	v_fma_f16 v106, v198, s5, v106
	v_fma_f16 v202, v104, s12, v202
	;; [unrolled: 1-line block ×3, first 2 shown]
	v_mul_f16_e32 v106, 0xb8b4, v200
	s_movk_i32 s15, 0x3a79
	v_mul_f16_e32 v204, 0xbb9c, v104
	v_mul_f16_e32 v206, 0xb8b4, v197
	s_mov_b32 s17, 0xba79
	v_mul_f16_e32 v104, 0xb4f2, v104
	v_mul_f16_e32 v197, 0xba79, v197
	v_fma_f16 v106, v196, s15, v106
	v_mul_f16_e32 v201, 0xbb9c, v202
	s_mov_b32 s16, 0xb4f2
	v_fma_f16 v206, v191, s17, v206
	v_mul_f16_e32 v196, 0x38b4, v196
	v_mul_f16_e32 v202, 0x34f2, v202
	v_fma_f16 v104, v194, s13, v104
	v_fma_f16 v191, v191, s14, v197
	;; [unrolled: 1-line block ×6, first 2 shown]
	v_add_f16_e32 v194, v107, v104
	v_add_f16_e32 v197, v190, v191
	v_sub_f16_e32 v104, v107, v104
	v_sub_f16_e32 v107, v190, v191
	v_add_f16_e32 v191, v94, v96
	v_add_f16_e32 v198, v189, v106
	;; [unrolled: 1-line block ×5, first 2 shown]
	v_sub_f16_e32 v106, v189, v106
	v_sub_f16_e32 v189, v192, v201
	;; [unrolled: 1-line block ×4, first 2 shown]
	v_fma_f16 v191, v191, -0.5, v110
	v_sub_f16_sdwa v195, v108, v98 dst_sel:DWORD dst_unused:UNUSED_PAD src0_sel:WORD_1 src1_sel:WORD_1
	v_add_f16_e32 v205, v188, v204
	v_sub_f16_e32 v188, v188, v204
	v_fma_f16 v196, v195, s4, v191
	v_sub_f16_sdwa v199, v94, v96 dst_sel:DWORD dst_unused:UNUSED_PAD src0_sel:WORD_1 src1_sel:WORD_1
	v_sub_f16_e32 v201, v98, v96
	v_sub_f16_e32 v204, v108, v94
	v_fma_f16 v191, v195, s13, v191
	v_fma_f16 v196, v199, s5, v196
	v_add_f16_e32 v201, v204, v201
	v_fma_f16 v191, v199, s14, v191
	v_fma_f16 v196, v201, s12, v196
	;; [unrolled: 1-line block ×3, first 2 shown]
	v_add_f16_e32 v201, v108, v98
	v_fma_f16 v201, v201, -0.5, v110
	v_fma_f16 v204, v199, s13, v201
	v_fma_f16 v199, v199, s4, v201
	v_add_f16_e32 v207, v187, v206
	v_sub_f16_e32 v187, v187, v206
	v_pk_add_f16 v190, v110, v108
	v_fma_f16 v204, v195, s5, v204
	v_sub_f16_e32 v206, v96, v98
	v_sub_f16_e32 v208, v94, v108
	v_fma_f16 v195, v195, s14, v199
	v_add_f16_sdwa v199, v94, v96 dst_sel:DWORD dst_unused:UNUSED_PAD src0_sel:WORD_1 src1_sel:WORD_1
	v_lshrrev_b32_e32 v110, 16, v110
	v_add_f16_e32 v206, v208, v206
	v_fma_f16 v199, v199, -0.5, v110
	v_sub_f16_e32 v201, v108, v98
	v_fma_f16 v204, v206, s12, v204
	v_fma_f16 v195, v206, s12, v195
	;; [unrolled: 1-line block ×3, first 2 shown]
	v_sub_f16_e32 v208, v94, v96
	v_sub_f16_sdwa v209, v108, v94 dst_sel:DWORD dst_unused:UNUSED_PAD src0_sel:WORD_1 src1_sel:WORD_1
	v_sub_f16_sdwa v210, v98, v96 dst_sel:DWORD dst_unused:UNUSED_PAD src0_sel:WORD_1 src1_sel:WORD_1
	v_fma_f16 v199, v201, s4, v199
	v_fma_f16 v206, v208, s14, v206
	v_add_f16_e32 v209, v209, v210
	v_fma_f16 v199, v208, s5, v199
	v_fma_f16 v206, v209, s12, v206
	;; [unrolled: 1-line block ×3, first 2 shown]
	v_add_f16_sdwa v209, v108, v98 dst_sel:DWORD dst_unused:UNUSED_PAD src0_sel:WORD_1 src1_sel:WORD_1
	v_fma_f16 v110, v209, -0.5, v110
	v_fma_f16 v209, v208, s4, v110
	v_fma_f16 v110, v208, s13, v110
	;; [unrolled: 1-line block ×4, first 2 shown]
	s_waitcnt lgkmcnt(1)
	v_add_f16_e32 v201, v87, v89
	v_sub_f16_sdwa v108, v94, v108 dst_sel:DWORD dst_unused:UNUSED_PAD src0_sel:WORD_1 src1_sel:WORD_1
	v_sub_f16_sdwa v210, v96, v98 dst_sel:DWORD dst_unused:UNUSED_PAD src0_sel:WORD_1 src1_sel:WORD_1
	v_fma_f16 v201, v201, -0.5, v101
	s_waitcnt lgkmcnt(0)
	v_sub_f16_sdwa v208, v99, v91 dst_sel:DWORD dst_unused:UNUSED_PAD src0_sel:WORD_1 src1_sel:WORD_1
	v_add_f16_e32 v108, v108, v210
	v_fma_f16 v210, v208, s4, v201
	v_sub_f16_sdwa v211, v87, v89 dst_sel:DWORD dst_unused:UNUSED_PAD src0_sel:WORD_1 src1_sel:WORD_1
	v_sub_f16_e32 v212, v91, v89
	v_sub_f16_e32 v213, v99, v87
	v_fma_f16 v201, v208, s13, v201
	v_fma_f16 v210, v211, s5, v210
	v_add_f16_e32 v212, v213, v212
	v_fma_f16 v201, v211, s14, v201
	v_fma_f16 v210, v212, s12, v210
	;; [unrolled: 1-line block ×3, first 2 shown]
	v_add_f16_e32 v212, v99, v91
	v_fma_f16 v212, v212, -0.5, v101
	v_fma_f16 v213, v211, s13, v212
	v_fma_f16 v211, v211, s4, v212
	;; [unrolled: 1-line block ×4, first 2 shown]
	v_pk_add_f16 v110, v101, v99
	v_fma_f16 v213, v208, s5, v213
	v_sub_f16_e32 v214, v89, v91
	v_sub_f16_e32 v215, v87, v99
	v_fma_f16 v208, v208, s14, v211
	v_add_f16_sdwa v211, v87, v89 dst_sel:DWORD dst_unused:UNUSED_PAD src0_sel:WORD_1 src1_sel:WORD_1
	v_lshrrev_b32_e32 v101, 16, v101
	v_add_f16_e32 v214, v215, v214
	v_fma_f16 v211, v211, -0.5, v101
	v_sub_f16_e32 v212, v99, v91
	v_fma_f16 v213, v214, s12, v213
	v_fma_f16 v208, v214, s12, v208
	v_fma_f16 v214, v212, s13, v211
	v_sub_f16_e32 v215, v87, v89
	v_sub_f16_sdwa v216, v99, v87 dst_sel:DWORD dst_unused:UNUSED_PAD src0_sel:WORD_1 src1_sel:WORD_1
	v_sub_f16_sdwa v217, v91, v89 dst_sel:DWORD dst_unused:UNUSED_PAD src0_sel:WORD_1 src1_sel:WORD_1
	v_fma_f16 v211, v212, s4, v211
	v_fma_f16 v214, v215, s14, v214
	v_add_f16_e32 v216, v216, v217
	v_fma_f16 v211, v215, s5, v211
	v_fma_f16 v214, v216, s12, v214
	;; [unrolled: 1-line block ×3, first 2 shown]
	v_add_f16_sdwa v216, v99, v91 dst_sel:DWORD dst_unused:UNUSED_PAD src0_sel:WORD_1 src1_sel:WORD_1
	v_fma_f16 v101, v216, -0.5, v101
	v_fma_f16 v216, v215, s4, v101
	v_sub_f16_sdwa v99, v87, v99 dst_sel:DWORD dst_unused:UNUSED_PAD src0_sel:WORD_1 src1_sel:WORD_1
	v_sub_f16_sdwa v217, v89, v91 dst_sel:DWORD dst_unused:UNUSED_PAD src0_sel:WORD_1 src1_sel:WORD_1
	v_fma_f16 v101, v215, s13, v101
	v_fma_f16 v216, v212, s14, v216
	v_add_f16_e32 v99, v99, v217
	v_fma_f16 v101, v212, s5, v101
	v_fma_f16 v216, v99, s12, v216
	;; [unrolled: 1-line block ×3, first 2 shown]
	v_mul_f16_e32 v218, 0xbb9c, v99
	v_mul_f16_e32 v99, 0xb4f2, v99
	v_mul_f16_e32 v101, 0xb8b4, v214
	v_fma_f16 v99, v208, s13, v99
	v_fma_f16 v101, v210, s15, v101
	v_mul_f16_e32 v215, 0xbb9c, v216
	v_fma_f16 v218, v208, s16, v218
	v_mul_f16_e32 v210, 0x38b4, v210
	v_mul_f16_e32 v216, 0x34f2, v216
	v_add_f16_e32 v208, v108, v99
	v_sub_f16_e32 v108, v108, v99
	v_add_f16_e32 v99, v81, v83
	v_add_f16_e32 v212, v196, v101
	v_fma_f16 v215, v213, s12, v215
	v_fma_f16 v210, v214, s15, v210
	;; [unrolled: 1-line block ×3, first 2 shown]
	v_sub_f16_e32 v196, v196, v101
	v_fma_f16 v99, v99, -0.5, v105
	v_sub_f16_sdwa v101, v103, v85 dst_sel:DWORD dst_unused:UNUSED_PAD src0_sel:WORD_1 src1_sel:WORD_1
	v_add_f16_e32 v217, v204, v215
	v_add_f16_e32 v219, v195, v218
	;; [unrolled: 1-line block ×4, first 2 shown]
	v_sub_f16_e32 v204, v204, v215
	v_sub_f16_e32 v195, v195, v218
	;; [unrolled: 1-line block ×4, first 2 shown]
	v_fma_f16 v210, v101, s4, v99
	v_sub_f16_sdwa v213, v81, v83 dst_sel:DWORD dst_unused:UNUSED_PAD src0_sel:WORD_1 src1_sel:WORD_1
	v_sub_f16_e32 v215, v85, v83
	v_sub_f16_e32 v218, v103, v81
	v_fma_f16 v99, v101, s13, v99
	v_fma_f16 v210, v213, s5, v210
	v_add_f16_e32 v215, v218, v215
	v_fma_f16 v99, v213, s14, v99
	v_fma_f16 v210, v215, s12, v210
	;; [unrolled: 1-line block ×3, first 2 shown]
	v_add_f16_e32 v215, v103, v85
	v_mul_f16_e32 v220, 0xb8b4, v211
	v_mul_f16_e32 v211, 0xba79, v211
	v_fma_f16 v215, v215, -0.5, v105
	v_fma_f16 v220, v201, s17, v220
	v_fma_f16 v201, v201, s14, v211
	;; [unrolled: 1-line block ×4, first 2 shown]
	v_add_f16_e32 v221, v191, v220
	v_add_f16_e32 v211, v199, v201
	v_sub_f16_e32 v191, v191, v220
	v_sub_f16_e32 v199, v199, v201
	v_pk_add_f16 v201, v105, v103
	v_fma_f16 v218, v101, s5, v218
	v_sub_f16_e32 v220, v83, v85
	v_sub_f16_e32 v222, v81, v103
	v_fma_f16 v101, v101, s14, v213
	v_add_f16_sdwa v213, v81, v83 dst_sel:DWORD dst_unused:UNUSED_PAD src0_sel:WORD_1 src1_sel:WORD_1
	v_lshrrev_b32_e32 v105, 16, v105
	v_add_f16_e32 v220, v222, v220
	v_fma_f16 v213, v213, -0.5, v105
	v_sub_f16_e32 v215, v103, v85
	v_fma_f16 v218, v220, s12, v218
	v_fma_f16 v101, v220, s12, v101
	;; [unrolled: 1-line block ×3, first 2 shown]
	v_sub_f16_e32 v222, v81, v83
	v_sub_f16_sdwa v223, v103, v81 dst_sel:DWORD dst_unused:UNUSED_PAD src0_sel:WORD_1 src1_sel:WORD_1
	v_sub_f16_sdwa v224, v85, v83 dst_sel:DWORD dst_unused:UNUSED_PAD src0_sel:WORD_1 src1_sel:WORD_1
	v_fma_f16 v213, v215, s4, v213
	v_fma_f16 v220, v222, s14, v220
	v_add_f16_e32 v223, v223, v224
	v_fma_f16 v213, v222, s5, v213
	v_fma_f16 v220, v223, s12, v220
	;; [unrolled: 1-line block ×3, first 2 shown]
	v_add_f16_sdwa v223, v103, v85 dst_sel:DWORD dst_unused:UNUSED_PAD src0_sel:WORD_1 src1_sel:WORD_1
	v_fma_f16 v105, v223, -0.5, v105
	v_fma_f16 v223, v222, s4, v105
	v_fma_f16 v105, v222, s13, v105
	;; [unrolled: 1-line block ×4, first 2 shown]
	v_add_f16_e32 v215, v88, v90
	v_sub_f16_sdwa v103, v81, v103 dst_sel:DWORD dst_unused:UNUSED_PAD src0_sel:WORD_1 src1_sel:WORD_1
	v_sub_f16_sdwa v224, v83, v85 dst_sel:DWORD dst_unused:UNUSED_PAD src0_sel:WORD_1 src1_sel:WORD_1
	v_fma_f16 v215, v215, -0.5, v102
	v_sub_f16_sdwa v222, v100, v92 dst_sel:DWORD dst_unused:UNUSED_PAD src0_sel:WORD_1 src1_sel:WORD_1
	v_add_f16_e32 v103, v103, v224
	v_fma_f16 v224, v222, s4, v215
	v_sub_f16_sdwa v225, v88, v90 dst_sel:DWORD dst_unused:UNUSED_PAD src0_sel:WORD_1 src1_sel:WORD_1
	v_sub_f16_e32 v226, v92, v90
	v_sub_f16_e32 v227, v100, v88
	v_fma_f16 v215, v222, s13, v215
	v_fma_f16 v224, v225, s5, v224
	v_add_f16_e32 v226, v227, v226
	v_fma_f16 v215, v225, s14, v215
	v_fma_f16 v224, v226, s12, v224
	;; [unrolled: 1-line block ×3, first 2 shown]
	v_add_f16_e32 v226, v100, v92
	v_fma_f16 v226, v226, -0.5, v102
	v_fma_f16 v227, v225, s13, v226
	v_fma_f16 v225, v225, s4, v226
	;; [unrolled: 1-line block ×4, first 2 shown]
	v_pk_add_f16 v105, v102, v100
	v_fma_f16 v227, v222, s5, v227
	v_sub_f16_e32 v228, v90, v92
	v_sub_f16_e32 v229, v88, v100
	v_fma_f16 v222, v222, s14, v225
	v_add_f16_sdwa v225, v88, v90 dst_sel:DWORD dst_unused:UNUSED_PAD src0_sel:WORD_1 src1_sel:WORD_1
	v_lshrrev_b32_e32 v102, 16, v102
	v_add_f16_e32 v228, v229, v228
	v_fma_f16 v225, v225, -0.5, v102
	v_sub_f16_e32 v226, v100, v92
	v_fma_f16 v227, v228, s12, v227
	v_fma_f16 v222, v228, s12, v222
	;; [unrolled: 1-line block ×3, first 2 shown]
	v_sub_f16_e32 v229, v88, v90
	v_sub_f16_sdwa v230, v100, v88 dst_sel:DWORD dst_unused:UNUSED_PAD src0_sel:WORD_1 src1_sel:WORD_1
	v_sub_f16_sdwa v231, v92, v90 dst_sel:DWORD dst_unused:UNUSED_PAD src0_sel:WORD_1 src1_sel:WORD_1
	v_fma_f16 v225, v226, s4, v225
	v_fma_f16 v228, v229, s14, v228
	v_add_f16_e32 v230, v230, v231
	v_fma_f16 v225, v229, s5, v225
	v_fma_f16 v228, v230, s12, v228
	;; [unrolled: 1-line block ×3, first 2 shown]
	v_add_f16_sdwa v230, v100, v92 dst_sel:DWORD dst_unused:UNUSED_PAD src0_sel:WORD_1 src1_sel:WORD_1
	v_fma_f16 v102, v230, -0.5, v102
	v_fma_f16 v230, v229, s4, v102
	v_sub_f16_sdwa v100, v88, v100 dst_sel:DWORD dst_unused:UNUSED_PAD src0_sel:WORD_1 src1_sel:WORD_1
	v_sub_f16_sdwa v231, v90, v92 dst_sel:DWORD dst_unused:UNUSED_PAD src0_sel:WORD_1 src1_sel:WORD_1
	v_fma_f16 v102, v229, s13, v102
	v_fma_f16 v230, v226, s14, v230
	v_add_f16_e32 v100, v100, v231
	v_fma_f16 v102, v226, s5, v102
	v_fma_f16 v230, v100, s12, v230
	;; [unrolled: 1-line block ×3, first 2 shown]
	v_pk_add_f16 v93, v180, v93
	v_pk_add_f16 v82, v109, v82
	v_mul_f16_e32 v102, 0xb8b4, v228
	v_mul_f16_e32 v229, 0xbb9c, v230
	v_mul_f16_e32 v232, 0xbb9c, v100
	v_mul_f16_e32 v234, 0xb8b4, v225
	v_mul_f16_e32 v100, 0xb4f2, v100
	v_pk_add_f16 v93, v93, v95
	v_pk_add_f16 v82, v82, v84
	v_fma_f16 v102, v224, s15, v102
	v_fma_f16 v229, v227, s12, v229
	;; [unrolled: 1-line block ×5, first 2 shown]
	v_pk_add_f16 v93, v93, v97
	v_pk_add_f16 v82, v82, v86
	v_add_f16_e32 v226, v210, v102
	v_add_f16_e32 v231, v218, v229
	v_add_f16_e32 v233, v101, v232
	v_add_f16_e32 v235, v99, v234
	v_add_f16_e32 v222, v103, v100
	v_sub_f16_e32 v210, v210, v102
	v_sub_f16_e32 v218, v218, v229
	;; [unrolled: 1-line block ×5, first 2 shown]
	v_pk_add_f16 v99, v93, v82
	v_pack_b32_f16 v102, v205, v194
	v_pack_b32_f16 v101, v203, v202
	;; [unrolled: 1-line block ×3, first 2 shown]
	s_waitcnt lgkmcnt(0)
	; wave barrier
	ds_write2_b64 v154, v[99:100], v[101:102] offset1:1
	v_pk_add_f16 v100, v93, v82 neg_lo:[0,1] neg_hi:[0,1]
	v_pk_add_f16 v82, v190, v94
	v_pk_add_f16 v84, v110, v87
	;; [unrolled: 1-line block ×4, first 2 shown]
	v_pack_b32_f16 v102, v189, v193
	v_pack_b32_f16 v101, v106, v192
	;; [unrolled: 1-line block ×3, first 2 shown]
	v_pk_add_f16 v82, v82, v98
	v_pk_add_f16 v84, v84, v91
	;; [unrolled: 1-line block ×3, first 2 shown]
	ds_write2_b64 v154, v[99:100], v[101:102] offset0:2 offset1:3
	v_pack_b32_f16 v100, v187, v107
	v_pack_b32_f16 v99, v188, v104
	v_pk_add_f16 v86, v82, v84
	v_pack_b32_f16 v94, v219, v208
	v_pack_b32_f16 v93, v217, v216
	;; [unrolled: 1-line block ×3, first 2 shown]
	v_pk_add_f16 v81, v81, v83
	v_mul_f16_e32 v224, 0x38b4, v224
	v_mul_f16_e32 v230, 0x34f2, v230
	ds_write_b64 v154, v[99:100] offset:32
	ds_write2_b64 v155, v[86:87], v[93:94] offset1:1
	v_pk_add_f16 v87, v82, v84 neg_lo:[0,1] neg_hi:[0,1]
	v_pack_b32_f16 v94, v204, v209
	v_pack_b32_f16 v93, v196, v206
	;; [unrolled: 1-line block ×3, first 2 shown]
	v_pk_add_f16 v85, v81, v85
	v_pk_add_f16 v81, v105, v88
	v_fma_f16 v224, v228, s15, v224
	v_fma_f16 v227, v227, s13, v230
	v_mul_f16_e32 v225, 0xba79, v225
	ds_write2_b64 v155, v[86:87], v[93:94] offset0:2 offset1:3
	v_pack_b32_f16 v87, v191, v199
	v_pack_b32_f16 v86, v195, v108
	v_pk_add_f16 v81, v81, v90
	v_add_f16_e32 v228, v220, v224
	v_add_f16_e32 v230, v223, v227
	v_fma_f16 v215, v215, s14, v225
	ds_write_b64 v155, v[86:87] offset:32
	v_pk_add_f16 v86, v81, v92
	v_add_f16_e32 v225, v213, v215
	v_sub_f16_e32 v220, v220, v224
	v_sub_f16_e32 v223, v223, v227
	v_pk_add_f16 v81, v85, v86
	v_pack_b32_f16 v84, v233, v222
	v_pack_b32_f16 v83, v231, v230
	;; [unrolled: 1-line block ×3, first 2 shown]
	v_sub_f16_e32 v213, v213, v215
	ds_write2_b64 v156, v[81:82], v[83:84] offset1:1
	v_pk_add_f16 v82, v85, v86 neg_lo:[0,1] neg_hi:[0,1]
	v_pack_b32_f16 v84, v218, v223
	v_pack_b32_f16 v83, v210, v220
	;; [unrolled: 1-line block ×3, first 2 shown]
	ds_write2_b64 v156, v[81:82], v[83:84] offset0:2 offset1:3
	v_pack_b32_f16 v82, v232, v213
	v_pack_b32_f16 v81, v229, v103
	ds_write_b64 v156, v[81:82] offset:32
	s_and_saveexec_b64 s[2:3], s[0:1]
	s_cbranch_execz .LBB0_13
; %bb.12:
	v_sub_f16_e32 v81, v181, v185
	v_sub_f16_e32 v82, v146, v145
	v_add_f16_e32 v81, v81, v82
	v_add_f16_e32 v82, v185, v145
	v_sub_f16_e32 v91, v184, v186
	v_sub_f16_e32 v92, v149, v147
	;; [unrolled: 1-line block ×4, first 2 shown]
	v_fma_f16 v82, v82, -0.5, v182
	v_sub_f16_e32 v83, v77, v73
	v_add_f16_e32 v91, v91, v92
	v_add_f16_e32 v92, v186, v147
	;; [unrolled: 1-line block ×4, first 2 shown]
	v_fma_f16 v84, v83, s4, v82
	v_sub_f16_e32 v85, v79, v71
	v_fma_f16 v92, v92, -0.5, v183
	v_sub_f16_e32 v93, v78, v74
	v_fma_f16 v99, v99, -0.5, v182
	v_fma_f16 v82, v83, s13, v82
	v_fma_f16 v84, v85, s5, v84
	;; [unrolled: 1-line block ×3, first 2 shown]
	v_sub_f16_e32 v95, v80, v72
	v_fma_f16 v100, v85, s13, v99
	v_fma_f16 v99, v85, s4, v99
	v_fma_f16 v82, v85, s14, v82
	v_fma_f16 v85, v93, s13, v92
	v_fma_f16 v94, v95, s5, v94
	v_sub_f16_e32 v101, v80, v78
	v_sub_f16_e32 v102, v72, v74
	v_fma_f16 v85, v95, s14, v85
	v_sub_f16_e32 v86, v78, v80
	v_sub_f16_e32 v87, v74, v72
	v_fma_f16 v94, v91, s12, v94
	v_add_f16_e32 v101, v101, v102
	v_add_f16_e32 v102, v78, v74
	v_fma_f16 v85, v91, s12, v85
	v_sub_f16_e32 v91, v77, v79
	v_sub_f16_e32 v92, v73, v71
	;; [unrolled: 1-line block ×4, first 2 shown]
	v_add_f16_e32 v86, v86, v87
	v_add_f16_e32 v87, v80, v72
	v_sub_f16_e32 v90, v186, v147
	v_fma_f16 v100, v83, s5, v100
	v_fma_f16 v102, v102, -0.5, v76
	v_sub_f16_e32 v104, v186, v184
	v_sub_f16_e32 v105, v147, v149
	v_fma_f16 v99, v83, s14, v99
	v_add_f16_e32 v91, v91, v92
	v_add_f16_e32 v92, v79, v71
	;; [unrolled: 1-line block ×4, first 2 shown]
	v_fma_f16 v87, v87, -0.5, v76
	v_sub_f16_e32 v88, v184, v149
	v_fma_f16 v100, v98, s12, v100
	v_fma_f16 v103, v90, s4, v102
	v_add_f16_e32 v104, v104, v105
	v_add_f16_e32 v105, v184, v149
	v_fma_f16 v98, v98, s12, v99
	v_fma_f16 v99, v90, s13, v102
	v_fma_f16 v92, v92, -0.5, v75
	v_fma_f16 v110, v110, -0.5, v75
	v_add_f16_e32 v75, v75, v77
	v_fma_f16 v84, v81, s12, v84
	v_fma_f16 v103, v88, s14, v103
	v_fma_f16 v105, v105, -0.5, v183
	v_fma_f16 v99, v88, s5, v99
	v_fma_f16 v81, v81, s12, v82
	;; [unrolled: 1-line block ×3, first 2 shown]
	v_add_f16_e32 v75, v75, v79
	v_fma_f16 v89, v88, s13, v87
	v_fma_f16 v103, v101, s12, v103
	;; [unrolled: 1-line block ×6, first 2 shown]
	v_add_f16_e32 v87, v182, v181
	v_add_f16_e32 v71, v75, v71
	v_fma_f16 v106, v93, s5, v106
	v_fma_f16 v101, v93, s14, v101
	;; [unrolled: 1-line block ×3, first 2 shown]
	v_add_f16_e32 v87, v87, v185
	v_add_f16_e32 v88, v183, v184
	v_sub_f16_e32 v93, v181, v146
	v_sub_f16_e32 v105, v185, v145
	v_add_f16_e32 v71, v71, v73
	v_add_f16_e32 v73, v76, v78
	v_fma_f16 v106, v104, s12, v106
	v_fma_f16 v101, v104, s12, v101
	v_mul_f16_e32 v83, 0x38b4, v82
	v_add_f16_e32 v87, v87, v145
	v_add_f16_e32 v88, v88, v186
	v_fma_f16 v95, v93, s13, v92
	v_fma_f16 v145, v105, s4, v110
	;; [unrolled: 1-line block ×4, first 2 shown]
	v_add_f16_e32 v73, v73, v80
	v_fma_f16 v89, v90, s14, v89
	v_mul_f16_e32 v107, 0xb4f2, v106
	v_mul_f16_e32 v102, 0x34f2, v101
	v_fma_f16 v83, v85, s15, v83
	v_add_f16_e32 v88, v88, v147
	v_fma_f16 v95, v105, s14, v95
	v_fma_f16 v145, v93, s14, v145
	v_mul_f16_e32 v106, 0xbb9c, v106
	v_fma_f16 v110, v93, s5, v110
	v_mul_f16_e32 v101, 0xbb9c, v101
	;; [unrolled: 2-line block ×3, first 2 shown]
	v_add_f16_e32 v72, v73, v72
	v_fma_f16 v89, v86, s12, v89
	v_mul_f16_e32 v96, 0xba79, v94
	v_fma_f16 v107, v103, s13, v107
	v_fma_f16 v102, v99, s13, v102
	v_add_f16_e32 v87, v87, v146
	v_add_f16_e32 v88, v88, v149
	v_fma_f16 v95, v91, s12, v95
	v_mul_f16_e32 v94, 0xb8b4, v94
	v_fma_f16 v145, v109, s12, v145
	v_fma_f16 v103, v103, s16, v106
	;; [unrolled: 1-line block ×6, first 2 shown]
	v_add_f16_e32 v72, v72, v74
	v_fma_f16 v96, v89, s14, v96
	v_sub_f16_e32 v86, v81, v83
	v_fma_f16 v89, v89, s17, v94
	v_sub_f16_e32 v85, v91, v82
	v_add_f16_e32 v73, v100, v107
	v_add_f16_e32 v74, v98, v102
	;; [unrolled: 1-line block ×8, first 2 shown]
	v_sub_f16_e32 v97, v84, v96
	v_sub_f16_e32 v104, v98, v102
	;; [unrolled: 1-line block ×5, first 2 shown]
	v_add_f16_e32 v76, v84, v96
	v_add_f16_e32 v79, v95, v89
	v_lshlrev_b32_e32 v84, 2, v148
	v_pack_b32_f16 v72, v80, v73
	v_pack_b32_f16 v71, v81, v74
	;; [unrolled: 1-line block ×4, first 2 shown]
	v_sub_f16_e32 v108, v100, v107
	v_sub_f16_e32 v94, v95, v89
	;; [unrolled: 1-line block ×3, first 2 shown]
	ds_write2_b64 v84, v[73:74], v[71:72] offset1:1
	v_pack_b32_f16 v72, v101, v104
	v_pack_b32_f16 v71, v85, v86
	;; [unrolled: 1-line block ×4, first 2 shown]
	ds_write2_b64 v84, v[73:74], v[71:72] offset0:2 offset1:3
	v_pack_b32_f16 v72, v94, v97
	v_pack_b32_f16 v71, v106, v108
	ds_write_b64 v84, v[71:72] offset:32
.LBB0_13:
	s_or_b64 exec, exec, s[2:3]
	v_add_u32_e32 v75, 0x400, v111
	s_waitcnt lgkmcnt(0)
	; wave barrier
	s_waitcnt lgkmcnt(0)
	ds_read2_b32 v[84:85], v75 offset0:104 offset1:164
	v_add_u32_e32 v74, 0xa00, v111
	ds_read2_b32 v[86:87], v74 offset0:80 offset1:140
	v_add_u32_e32 v71, 0x1000, v111
	;; [unrolled: 2-line block ×3, first 2 shown]
	s_waitcnt lgkmcnt(2)
	v_lshrrev_b32_e32 v149, 16, v84
	ds_read2_b32 v[90:91], v77 offset0:160 offset1:220
	v_mul_f16_sdwa v215, v0, v149 dst_sel:DWORD dst_unused:UNUSED_PAD src0_sel:WORD_1 src1_sel:DWORD
	v_add_u32_e32 v76, 0x1c00, v111
	s_waitcnt lgkmcnt(2)
	v_lshrrev_b32_e32 v156, 16, v86
	v_fma_f16 v215, v0, v84, v215
	v_mul_f16_sdwa v84, v0, v84 dst_sel:DWORD dst_unused:UNUSED_PAD src0_sel:WORD_1 src1_sel:DWORD
	ds_read2_b32 v[92:93], v76 offset0:8 offset1:68
	v_fma_f16 v0, v0, v149, -v84
	v_mul_f16_sdwa v84, v1, v156 dst_sel:DWORD dst_unused:UNUSED_PAD src0_sel:WORD_1 src1_sel:DWORD
	s_waitcnt lgkmcnt(2)
	v_lshrrev_b32_e32 v182, 16, v88
	v_add_u32_e32 v81, 0x600, v111
	v_fma_f16 v84, v1, v86, v84
	v_mul_f16_sdwa v86, v1, v86 dst_sel:DWORD dst_unused:UNUSED_PAD src0_sel:WORD_1 src1_sel:DWORD
	ds_read2_b32 v[96:97], v81 offset0:96 offset1:156
	v_fma_f16 v1, v1, v156, -v86
	v_mul_f16_sdwa v86, v2, v182 dst_sel:DWORD dst_unused:UNUSED_PAD src0_sel:WORD_1 src1_sel:DWORD
	s_waitcnt lgkmcnt(2)
	v_lshrrev_b32_e32 v183, 16, v90
	v_lshrrev_b32_e32 v186, 16, v85
	v_fma_f16 v86, v2, v88, v86
	v_mul_f16_sdwa v88, v2, v88 dst_sel:DWORD dst_unused:UNUSED_PAD src0_sel:WORD_1 src1_sel:DWORD
	v_add_u32_e32 v78, 0xc00, v111
	v_fma_f16 v2, v2, v182, -v88
	v_mul_f16_sdwa v88, v3, v183 dst_sel:DWORD dst_unused:UNUSED_PAD src0_sel:WORD_1 src1_sel:DWORD
	v_mul_f16_sdwa v149, v4, v186 dst_sel:DWORD dst_unused:UNUSED_PAD src0_sel:WORD_1 src1_sel:DWORD
	ds_read2_b32 v[82:83], v111 offset1:60
	s_waitcnt lgkmcnt(2)
	v_lshrrev_b32_e32 v184, 16, v92
	ds_read2_b32 v[94:95], v111 offset0:120 offset1:180
	v_lshrrev_b32_e32 v187, 16, v87
	ds_read2_b32 v[98:99], v78 offset0:72 offset1:132
	ds_read2_b32 v[100:101], v71 offset0:176 offset1:236
	v_fma_f16 v88, v3, v90, v88
	v_mul_f16_sdwa v90, v3, v90 dst_sel:DWORD dst_unused:UNUSED_PAD src0_sel:WORD_1 src1_sel:DWORD
	v_fma_f16 v149, v4, v85, v149
	v_mul_f16_sdwa v85, v4, v85 dst_sel:DWORD dst_unused:UNUSED_PAD src0_sel:WORD_1 src1_sel:DWORD
	v_fma_f16 v3, v3, v183, -v90
	v_mul_f16_sdwa v90, v150, v184 dst_sel:DWORD dst_unused:UNUSED_PAD src0_sel:WORD_1 src1_sel:DWORD
	v_fma_f16 v4, v4, v186, -v85
	v_mul_f16_sdwa v85, v5, v187 dst_sel:DWORD dst_unused:UNUSED_PAD src0_sel:WORD_1 src1_sel:DWORD
	v_lshrrev_b32_e32 v188, 16, v89
	s_waitcnt lgkmcnt(4)
	v_lshrrev_b32_e32 v192, 16, v96
	v_fma_f16 v90, v150, v92, v90
	v_mul_f16_sdwa v92, v150, v92 dst_sel:DWORD dst_unused:UNUSED_PAD src0_sel:WORD_1 src1_sel:DWORD
	v_fma_f16 v85, v5, v87, v85
	v_mul_f16_sdwa v87, v5, v87 dst_sel:DWORD dst_unused:UNUSED_PAD src0_sel:WORD_1 src1_sel:DWORD
	v_add_u32_e32 v73, 0x1800, v111
	v_fma_f16 v92, v150, v184, -v92
	v_fma_f16 v5, v5, v187, -v87
	v_mul_f16_sdwa v87, v6, v188 dst_sel:DWORD dst_unused:UNUSED_PAD src0_sel:WORD_1 src1_sel:DWORD
	v_mul_f16_sdwa v150, v8, v192 dst_sel:DWORD dst_unused:UNUSED_PAD src0_sel:WORD_1 src1_sel:DWORD
	v_lshrrev_b32_e32 v189, 16, v91
	ds_read2_b32 v[102:103], v73 offset0:24 offset1:84
	ds_read2_b32 v[104:105], v76 offset0:128 offset1:188
	s_waitcnt lgkmcnt(3)
	v_lshrrev_b32_e32 v193, 16, v98
	v_fma_f16 v87, v6, v89, v87
	v_mul_f16_sdwa v89, v6, v89 dst_sel:DWORD dst_unused:UNUSED_PAD src0_sel:WORD_1 src1_sel:DWORD
	v_fma_f16 v150, v8, v96, v150
	v_mul_f16_sdwa v96, v8, v96 dst_sel:DWORD dst_unused:UNUSED_PAD src0_sel:WORD_1 src1_sel:DWORD
	v_fma_f16 v6, v6, v188, -v89
	v_mul_f16_sdwa v89, v7, v189 dst_sel:DWORD dst_unused:UNUSED_PAD src0_sel:WORD_1 src1_sel:DWORD
	v_fma_f16 v8, v8, v192, -v96
	v_mul_f16_sdwa v96, v9, v193 dst_sel:DWORD dst_unused:UNUSED_PAD src0_sel:WORD_1 src1_sel:DWORD
	v_lshrrev_b32_e32 v190, 16, v93
	s_waitcnt lgkmcnt(2)
	v_lshrrev_b32_e32 v194, 16, v100
	v_fma_f16 v89, v7, v91, v89
	v_mul_f16_sdwa v91, v7, v91 dst_sel:DWORD dst_unused:UNUSED_PAD src0_sel:WORD_1 src1_sel:DWORD
	v_fma_f16 v96, v9, v98, v96
	v_mul_f16_sdwa v98, v9, v98 dst_sel:DWORD dst_unused:UNUSED_PAD src0_sel:WORD_1 src1_sel:DWORD
	v_fma_f16 v7, v7, v189, -v91
	v_mul_f16_sdwa v91, v151, v190 dst_sel:DWORD dst_unused:UNUSED_PAD src0_sel:WORD_1 src1_sel:DWORD
	v_fma_f16 v9, v9, v193, -v98
	v_mul_f16_sdwa v98, v10, v194 dst_sel:DWORD dst_unused:UNUSED_PAD src0_sel:WORD_1 src1_sel:DWORD
	s_waitcnt lgkmcnt(1)
	v_lshrrev_b32_e32 v195, 16, v102
	v_lshrrev_b32_e32 v198, 16, v97
	v_fma_f16 v91, v151, v93, v91
	v_mul_f16_sdwa v93, v151, v93 dst_sel:DWORD dst_unused:UNUSED_PAD src0_sel:WORD_1 src1_sel:DWORD
	v_fma_f16 v98, v10, v100, v98
	v_mul_f16_sdwa v100, v10, v100 dst_sel:DWORD dst_unused:UNUSED_PAD src0_sel:WORD_1 src1_sel:DWORD
	v_add_u32_e32 v80, 0x200, v111
	v_add_u32_e32 v79, 0x800, v111
	v_fma_f16 v93, v151, v190, -v93
	v_fma_f16 v10, v10, v194, -v100
	v_mul_f16_sdwa v100, v11, v195 dst_sel:DWORD dst_unused:UNUSED_PAD src0_sel:WORD_1 src1_sel:DWORD
	v_mul_f16_sdwa v151, v12, v198 dst_sel:DWORD dst_unused:UNUSED_PAD src0_sel:WORD_1 src1_sel:DWORD
	s_waitcnt lgkmcnt(0)
	v_lshrrev_b32_e32 v196, 16, v104
	ds_read2_b32 v[106:107], v80 offset0:112 offset1:172
	v_lshrrev_b32_e32 v199, 16, v99
	ds_read2_b32 v[108:109], v79 offset0:88 offset1:148
	ds_read2_b32 v[145:146], v78 offset0:192 offset1:252
	;; [unrolled: 1-line block ×4, first 2 shown]
	v_fma_f16 v100, v11, v102, v100
	v_mul_f16_sdwa v102, v11, v102 dst_sel:DWORD dst_unused:UNUSED_PAD src0_sel:WORD_1 src1_sel:DWORD
	v_fma_f16 v151, v12, v97, v151
	v_mul_f16_sdwa v97, v12, v97 dst_sel:DWORD dst_unused:UNUSED_PAD src0_sel:WORD_1 src1_sel:DWORD
	v_fma_f16 v11, v11, v195, -v102
	v_mul_f16_sdwa v102, v152, v196 dst_sel:DWORD dst_unused:UNUSED_PAD src0_sel:WORD_1 src1_sel:DWORD
	v_fma_f16 v12, v12, v198, -v97
	v_mul_f16_sdwa v97, v13, v199 dst_sel:DWORD dst_unused:UNUSED_PAD src0_sel:WORD_1 src1_sel:DWORD
	v_lshrrev_b32_e32 v200, 16, v101
	s_waitcnt lgkmcnt(3)
	v_lshrrev_b32_e32 v204, 16, v108
	v_lshrrev_b32_e32 v210, 16, v109
	v_fma_f16 v102, v152, v104, v102
	v_mul_f16_sdwa v104, v152, v104 dst_sel:DWORD dst_unused:UNUSED_PAD src0_sel:WORD_1 src1_sel:DWORD
	v_fma_f16 v97, v13, v99, v97
	v_mul_f16_sdwa v99, v13, v99 dst_sel:DWORD dst_unused:UNUSED_PAD src0_sel:WORD_1 src1_sel:DWORD
	v_add_u32_e32 v72, 0x1e00, v111
	v_fma_f16 v104, v152, v196, -v104
	v_fma_f16 v13, v13, v199, -v99
	v_mul_f16_sdwa v99, v14, v200 dst_sel:DWORD dst_unused:UNUSED_PAD src0_sel:WORD_1 src1_sel:DWORD
	v_mul_f16_sdwa v152, v16, v204 dst_sel:DWORD dst_unused:UNUSED_PAD src0_sel:WORD_1 src1_sel:DWORD
	;; [unrolled: 1-line block ×3, first 2 shown]
	v_lshrrev_b32_e32 v201, 16, v103
	ds_read2_b32 v[180:181], v72 offset0:120 offset1:180
	s_waitcnt lgkmcnt(3)
	v_lshrrev_b32_e32 v205, 16, v145
	v_lshrrev_b32_e32 v211, 16, v146
	v_fma_f16 v99, v14, v101, v99
	v_mul_f16_sdwa v101, v14, v101 dst_sel:DWORD dst_unused:UNUSED_PAD src0_sel:WORD_1 src1_sel:DWORD
	v_fma_f16 v152, v16, v108, v152
	v_mul_f16_sdwa v108, v16, v108 dst_sel:DWORD dst_unused:UNUSED_PAD src0_sel:WORD_1 src1_sel:DWORD
	v_fma_f16 v156, v20, v109, v156
	v_mul_f16_sdwa v109, v20, v109 dst_sel:DWORD dst_unused:UNUSED_PAD src0_sel:WORD_1 src1_sel:DWORD
	v_fma_f16 v14, v14, v200, -v101
	v_mul_f16_sdwa v101, v15, v201 dst_sel:DWORD dst_unused:UNUSED_PAD src0_sel:WORD_1 src1_sel:DWORD
	v_fma_f16 v16, v16, v204, -v108
	v_mul_f16_sdwa v108, v17, v205 dst_sel:DWORD dst_unused:UNUSED_PAD src0_sel:WORD_1 src1_sel:DWORD
	;; [unrolled: 2-line block ×3, first 2 shown]
	v_lshrrev_b32_e32 v202, 16, v105
	s_waitcnt lgkmcnt(2)
	v_lshrrev_b32_e32 v206, 16, v147
	v_lshrrev_b32_e32 v212, 16, v148
	v_fma_f16 v101, v15, v103, v101
	v_mul_f16_sdwa v103, v15, v103 dst_sel:DWORD dst_unused:UNUSED_PAD src0_sel:WORD_1 src1_sel:DWORD
	v_fma_f16 v108, v17, v145, v108
	v_mul_f16_sdwa v145, v17, v145 dst_sel:DWORD dst_unused:UNUSED_PAD src0_sel:WORD_1 src1_sel:DWORD
	;; [unrolled: 2-line block ×3, first 2 shown]
	v_fma_f16 v15, v15, v201, -v103
	v_mul_f16_sdwa v103, v153, v202 dst_sel:DWORD dst_unused:UNUSED_PAD src0_sel:WORD_1 src1_sel:DWORD
	v_fma_f16 v17, v17, v205, -v145
	v_mul_f16_sdwa v145, v18, v206 dst_sel:DWORD dst_unused:UNUSED_PAD src0_sel:WORD_1 src1_sel:DWORD
	;; [unrolled: 2-line block ×3, first 2 shown]
	s_waitcnt lgkmcnt(1)
	v_lshrrev_b32_e32 v207, 16, v154
	v_lshrrev_b32_e32 v213, 16, v155
	v_fma_f16 v103, v153, v105, v103
	v_mul_f16_sdwa v105, v153, v105 dst_sel:DWORD dst_unused:UNUSED_PAD src0_sel:WORD_1 src1_sel:DWORD
	v_fma_f16 v145, v18, v147, v145
	v_mul_f16_sdwa v147, v18, v147 dst_sel:DWORD dst_unused:UNUSED_PAD src0_sel:WORD_1 src1_sel:DWORD
	;; [unrolled: 2-line block ×3, first 2 shown]
	s_waitcnt lgkmcnt(0)
	v_lshrrev_b32_e32 v208, 16, v180
	v_fma_f16 v105, v153, v202, -v105
	v_fma_f16 v18, v18, v206, -v147
	v_mul_f16_sdwa v147, v19, v207 dst_sel:DWORD dst_unused:UNUSED_PAD src0_sel:WORD_1 src1_sel:DWORD
	v_mul_f16_sdwa v153, v19, v154 dst_sel:DWORD dst_unused:UNUSED_PAD src0_sel:WORD_1 src1_sel:DWORD
	v_fma_f16 v22, v22, v212, -v148
	v_mul_f16_sdwa v148, v23, v213 dst_sel:DWORD dst_unused:UNUSED_PAD src0_sel:WORD_1 src1_sel:DWORD
	v_lshrrev_b32_e32 v214, 16, v181
	v_fma_f16 v147, v19, v154, v147
	v_fma_f16 v19, v19, v207, -v153
	v_mul_f16_sdwa v153, v157, v208 dst_sel:DWORD dst_unused:UNUSED_PAD src0_sel:WORD_1 src1_sel:DWORD
	v_mul_f16_sdwa v154, v157, v180 dst_sel:DWORD dst_unused:UNUSED_PAD src0_sel:WORD_1 src1_sel:DWORD
	v_fma_f16 v148, v23, v155, v148
	v_mul_f16_sdwa v155, v23, v155 dst_sel:DWORD dst_unused:UNUSED_PAD src0_sel:WORD_1 src1_sel:DWORD
	v_fma_f16 v153, v157, v180, v153
	v_fma_f16 v154, v157, v208, -v154
	v_fma_f16 v23, v23, v213, -v155
	v_mul_f16_sdwa v155, v158, v214 dst_sel:DWORD dst_unused:UNUSED_PAD src0_sel:WORD_1 src1_sel:DWORD
	v_mul_f16_sdwa v157, v158, v181 dst_sel:DWORD dst_unused:UNUSED_PAD src0_sel:WORD_1 src1_sel:DWORD
	v_add_f16_e32 v180, v84, v88
	v_lshrrev_b32_e32 v110, 16, v82
	v_fma_f16 v155, v158, v181, v155
	v_fma_f16 v157, v158, v214, -v157
	v_add_f16_e32 v158, v82, v84
	v_fma_f16 v82, v180, -0.5, v82
	v_sub_f16_e32 v180, v1, v3
	s_mov_b32 s3, 0xbaee
	s_movk_i32 s2, 0x3aee
	v_fma_f16 v181, v180, s3, v82
	v_fma_f16 v82, v180, s2, v82
	v_add_f16_e32 v180, v110, v1
	v_add_f16_e32 v158, v158, v88
	v_add_f16_e32 v180, v180, v3
	v_add_f16_e32 v1, v1, v3
	v_sub_f16_e32 v3, v84, v88
	v_add_f16_e32 v88, v86, v90
	v_fma_f16 v1, v1, -0.5, v110
	v_fma_f16 v88, v88, -0.5, v215
	v_sub_f16_e32 v110, v2, v92
	v_fma_f16 v182, v110, s3, v88
	v_fma_f16 v88, v110, s2, v88
	v_add_f16_e32 v110, v0, v2
	v_add_f16_e32 v2, v2, v92
	v_fma_f16 v0, v2, -0.5, v0
	v_sub_f16_e32 v2, v86, v90
	v_fma_f16 v84, v3, s2, v1
	v_fma_f16 v1, v3, s3, v1
	v_add_f16_e32 v3, v215, v86
	v_fma_f16 v86, v2, s2, v0
	v_add_f16_e32 v3, v3, v90
	v_fma_f16 v0, v2, s3, v0
	v_mul_f16_e32 v90, 0xbaee, v86
	v_mul_f16_e32 v86, 0.5, v86
	v_mul_f16_e32 v183, 0xbaee, v0
	v_fma_f16 v86, v182, s2, v86
	v_mul_f16_e32 v0, -0.5, v0
	v_fma_f16 v90, v182, 0.5, v90
	v_add_f16_e32 v182, v84, v86
	v_fma_f16 v0, v88, s2, v0
	v_sub_f16_e32 v84, v84, v86
	v_add_f16_e32 v86, v85, v89
	v_lshrrev_b32_e32 v185, 16, v83
	v_fma_f16 v183, v88, -0.5, v183
	v_add_f16_e32 v88, v1, v0
	v_sub_f16_e32 v0, v1, v0
	v_add_f16_e32 v1, v83, v85
	v_fma_f16 v83, v86, -0.5, v83
	v_sub_f16_e32 v86, v5, v7
	v_add_f16_e32 v2, v158, v3
	v_sub_f16_e32 v3, v158, v3
	v_fma_f16 v158, v86, s3, v83
	v_fma_f16 v83, v86, s2, v83
	v_add_f16_e32 v86, v185, v5
	v_add_f16_e32 v5, v5, v7
	;; [unrolled: 1-line block ×4, first 2 shown]
	v_fma_f16 v5, v5, -0.5, v185
	v_sub_f16_e32 v7, v85, v89
	v_add_f16_e32 v89, v87, v91
	v_add_f16_e32 v110, v110, v92
	v_fma_f16 v85, v7, s2, v5
	v_fma_f16 v5, v7, s3, v5
	v_add_f16_e32 v7, v149, v87
	v_fma_f16 v89, v89, -0.5, v149
	v_sub_f16_e32 v149, v6, v93
	v_add_f16_e32 v186, v180, v110
	v_sub_f16_e32 v110, v180, v110
	v_fma_f16 v180, v149, s3, v89
	v_fma_f16 v89, v149, s2, v89
	v_add_f16_e32 v149, v4, v6
	v_add_f16_e32 v6, v6, v93
	v_fma_f16 v4, v6, -0.5, v4
	v_sub_f16_e32 v6, v87, v91
	v_fma_f16 v87, v6, s2, v4
	v_add_f16_e32 v7, v7, v91
	v_mul_f16_e32 v91, 0xbaee, v87
	v_mul_f16_e32 v87, 0.5, v87
	v_fma_f16 v4, v6, s3, v4
	v_fma_f16 v87, v180, s2, v87
	v_add_f16_e32 v92, v181, v90
	v_sub_f16_e32 v90, v181, v90
	v_fma_f16 v91, v180, 0.5, v91
	v_mul_f16_e32 v181, 0xbaee, v4
	v_add_f16_e32 v180, v85, v87
	v_mul_f16_e32 v4, -0.5, v4
	v_sub_f16_e32 v85, v85, v87
	v_add_f16_e32 v87, v96, v100
	v_lshrrev_b32_e32 v191, 16, v94
	v_add_f16_e32 v149, v149, v93
	v_add_f16_e32 v6, v1, v7
	;; [unrolled: 1-line block ×3, first 2 shown]
	v_fma_f16 v4, v89, s2, v4
	v_sub_f16_e32 v1, v1, v7
	v_sub_f16_e32 v7, v158, v91
	v_fma_f16 v87, v87, -0.5, v94
	v_sub_f16_e32 v91, v9, v11
	v_fma_f16 v181, v89, -0.5, v181
	v_add_f16_e32 v89, v5, v4
	v_sub_f16_e32 v4, v5, v4
	v_add_f16_e32 v5, v94, v96
	v_fma_f16 v94, v91, s3, v87
	v_fma_f16 v87, v91, s2, v87
	v_add_f16_e32 v91, v191, v9
	v_add_f16_e32 v5, v5, v100
	;; [unrolled: 1-line block ×4, first 2 shown]
	v_sub_f16_e32 v11, v96, v100
	v_add_f16_e32 v100, v98, v102
	v_add_f16_e32 v185, v86, v149
	v_sub_f16_e32 v86, v86, v149
	v_fma_f16 v9, v9, -0.5, v191
	v_fma_f16 v100, v100, -0.5, v150
	v_sub_f16_e32 v149, v10, v104
	v_fma_f16 v96, v11, s2, v9
	v_fma_f16 v9, v11, s3, v9
	v_add_f16_e32 v11, v150, v98
	v_fma_f16 v150, v149, s3, v100
	v_fma_f16 v100, v149, s2, v100
	v_add_f16_e32 v149, v8, v10
	v_add_f16_e32 v10, v10, v104
	v_fma_f16 v8, v10, -0.5, v8
	v_sub_f16_e32 v10, v98, v102
	v_fma_f16 v98, v10, s2, v8
	v_add_f16_e32 v11, v11, v102
	v_fma_f16 v8, v10, s3, v8
	v_mul_f16_e32 v102, 0xbaee, v98
	v_mul_f16_e32 v98, 0.5, v98
	v_fma_f16 v102, v150, 0.5, v102
	v_mul_f16_e32 v158, 0xbaee, v8
	v_fma_f16 v98, v150, s2, v98
	v_mul_f16_e32 v8, -0.5, v8
	v_add_f16_e32 v149, v149, v104
	v_add_f16_e32 v10, v5, v11
	;; [unrolled: 1-line block ×4, first 2 shown]
	v_fma_f16 v8, v100, s2, v8
	v_sub_f16_e32 v5, v5, v11
	v_sub_f16_e32 v11, v94, v102
	;; [unrolled: 1-line block ×3, first 2 shown]
	v_add_f16_e32 v96, v97, v101
	v_lshrrev_b32_e32 v197, 16, v95
	v_fma_f16 v158, v100, -0.5, v158
	v_add_f16_e32 v100, v9, v8
	v_sub_f16_e32 v8, v9, v8
	v_add_f16_e32 v9, v95, v97
	v_fma_f16 v95, v96, -0.5, v95
	v_sub_f16_e32 v96, v13, v15
	v_fma_f16 v98, v96, s3, v95
	v_fma_f16 v95, v96, s2, v95
	v_add_f16_e32 v96, v197, v13
	v_add_f16_e32 v9, v9, v101
	;; [unrolled: 1-line block ×4, first 2 shown]
	v_sub_f16_e32 v15, v97, v101
	v_add_f16_e32 v101, v99, v103
	v_fma_f16 v101, v101, -0.5, v151
	v_sub_f16_e32 v102, v14, v105
	v_add_f16_e32 v187, v91, v149
	v_sub_f16_e32 v91, v91, v149
	v_fma_f16 v149, v102, s3, v101
	v_fma_f16 v101, v102, s2, v101
	v_add_f16_e32 v102, v12, v14
	v_add_f16_e32 v14, v14, v105
	v_fma_f16 v13, v13, -0.5, v197
	v_fma_f16 v12, v14, -0.5, v12
	v_sub_f16_e32 v14, v99, v103
	v_fma_f16 v97, v15, s2, v13
	v_fma_f16 v13, v15, s3, v13
	v_add_f16_e32 v15, v151, v99
	v_fma_f16 v99, v14, s2, v12
	v_add_f16_e32 v15, v15, v103
	v_mul_f16_e32 v103, 0xbaee, v99
	v_fma_f16 v12, v14, s3, v12
	v_fma_f16 v103, v149, 0.5, v103
	v_mul_f16_e32 v99, 0.5, v99
	v_add_f16_e32 v102, v102, v105
	v_add_f16_e32 v14, v9, v15
	;; [unrolled: 1-line block ×3, first 2 shown]
	v_mul_f16_e32 v151, 0xbaee, v12
	v_fma_f16 v99, v149, s2, v99
	v_mul_f16_e32 v12, -0.5, v12
	v_sub_f16_e32 v9, v9, v15
	v_sub_f16_e32 v15, v98, v103
	v_add_f16_e32 v98, v108, v147
	v_lshrrev_b32_e32 v203, 16, v106
	v_add_f16_e32 v149, v97, v99
	v_fma_f16 v12, v101, s2, v12
	v_sub_f16_e32 v97, v97, v99
	v_fma_f16 v98, v98, -0.5, v106
	v_sub_f16_e32 v99, v17, v19
	v_fma_f16 v151, v101, -0.5, v151
	v_add_f16_e32 v188, v96, v102
	v_add_f16_e32 v101, v13, v12
	v_sub_f16_e32 v96, v96, v102
	v_sub_f16_e32 v12, v13, v12
	v_add_f16_e32 v13, v106, v108
	v_fma_f16 v102, v99, s3, v98
	v_fma_f16 v98, v99, s2, v98
	v_add_f16_e32 v99, v203, v17
	v_add_f16_e32 v106, v145, v153
	;; [unrolled: 1-line block ×4, first 2 shown]
	v_sub_f16_e32 v19, v108, v147
	v_fma_f16 v106, v106, -0.5, v152
	v_sub_f16_e32 v108, v18, v154
	v_add_f16_e32 v13, v13, v147
	v_fma_f16 v147, v108, s3, v106
	v_fma_f16 v106, v108, s2, v106
	v_add_f16_e32 v108, v16, v18
	v_add_f16_e32 v18, v18, v154
	v_fma_f16 v17, v17, -0.5, v203
	v_fma_f16 v16, v18, -0.5, v16
	v_sub_f16_e32 v18, v145, v153
	v_fma_f16 v103, v19, s2, v17
	v_fma_f16 v17, v19, s3, v17
	v_add_f16_e32 v19, v152, v145
	v_fma_f16 v145, v18, s2, v16
	v_add_f16_e32 v184, v82, v183
	v_sub_f16_e32 v82, v82, v183
	v_add_f16_e32 v183, v83, v181
	v_sub_f16_e32 v83, v83, v181
	;; [unrolled: 2-line block ×4, first 2 shown]
	v_fma_f16 v16, v18, s3, v16
	v_mul_f16_e32 v151, 0xbaee, v145
	v_mul_f16_e32 v145, 0.5, v145
	v_add_f16_e32 v19, v19, v153
	v_fma_f16 v151, v147, 0.5, v151
	v_mul_f16_e32 v153, 0xbaee, v16
	v_fma_f16 v145, v147, s2, v145
	v_mul_f16_e32 v16, -0.5, v16
	v_add_f16_e32 v18, v13, v19
	v_add_f16_e32 v152, v102, v151
	;; [unrolled: 1-line block ×3, first 2 shown]
	v_fma_f16 v16, v106, s2, v16
	v_sub_f16_e32 v13, v13, v19
	v_sub_f16_e32 v19, v102, v151
	v_sub_f16_e32 v102, v103, v145
	v_add_f16_e32 v103, v109, v148
	v_lshrrev_b32_e32 v209, 16, v107
	v_add_f16_e32 v108, v108, v154
	v_fma_f16 v153, v106, -0.5, v153
	v_add_f16_e32 v106, v17, v16
	v_sub_f16_e32 v16, v17, v16
	v_add_f16_e32 v17, v107, v109
	v_fma_f16 v103, v103, -0.5, v107
	v_sub_f16_e32 v107, v21, v23
	v_add_f16_e32 v189, v99, v108
	v_sub_f16_e32 v99, v99, v108
	v_fma_f16 v108, v107, s3, v103
	v_fma_f16 v103, v107, s2, v103
	v_add_f16_e32 v107, v209, v21
	v_add_f16_e32 v145, v146, v155
	v_add_f16_e32 v17, v17, v148
	v_add_f16_e32 v107, v107, v23
	v_add_f16_e32 v21, v21, v23
	v_sub_f16_e32 v23, v109, v148
	v_fma_f16 v145, v145, -0.5, v156
	v_sub_f16_e32 v148, v22, v157
	v_fma_f16 v151, v148, s3, v145
	v_fma_f16 v145, v148, s2, v145
	v_add_f16_e32 v148, v20, v22
	v_add_f16_e32 v22, v22, v157
	v_fma_f16 v21, v21, -0.5, v209
	v_fma_f16 v20, v22, -0.5, v20
	v_sub_f16_e32 v22, v146, v155
	v_fma_f16 v109, v23, s2, v21
	v_fma_f16 v21, v23, s3, v21
	v_add_f16_e32 v23, v156, v146
	v_fma_f16 v146, v22, s2, v20
	v_fma_f16 v20, v22, s3, v20
	v_mul_f16_e32 v156, 0xbaee, v20
	v_mul_f16_e32 v20, -0.5, v20
	v_fma_f16 v20, v145, s2, v20
	v_fma_f16 v156, v145, -0.5, v156
	v_add_f16_e32 v145, v21, v20
	v_sub_f16_e32 v20, v21, v20
	v_pack_b32_f16 v2, v2, v186
	v_pack_b32_f16 v21, v92, v182
	s_waitcnt lgkmcnt(0)
	; wave barrier
	ds_write2_b32 v159, v2, v21 offset1:10
	v_pack_b32_f16 v2, v184, v88
	v_pack_b32_f16 v3, v3, v110
	ds_write2_b32 v159, v2, v3 offset0:20 offset1:30
	v_pack_b32_f16 v2, v90, v84
	v_pack_b32_f16 v0, v82, v0
	ds_write2_b32 v159, v2, v0 offset0:40 offset1:50
	v_pack_b32_f16 v0, v6, v185
	v_pack_b32_f16 v2, v93, v180
	ds_write2_b32 v160, v0, v2 offset1:10
	v_pack_b32_f16 v0, v183, v89
	v_pack_b32_f16 v1, v1, v86
	ds_write2_b32 v160, v0, v1 offset0:20 offset1:30
	v_pack_b32_f16 v0, v7, v85
	v_pack_b32_f16 v1, v83, v4
	ds_write2_b32 v160, v0, v1 offset0:40 offset1:50
	v_pack_b32_f16 v0, v10, v187
	v_pack_b32_f16 v1, v104, v150
	;; [unrolled: 9-line block ×3, first 2 shown]
	ds_write2_b32 v163, v0, v1 offset1:10
	v_pack_b32_f16 v0, v158, v101
	v_pack_b32_f16 v1, v9, v96
	ds_write2_b32 v163, v0, v1 offset0:20 offset1:30
	v_pack_b32_f16 v0, v15, v97
	v_pack_b32_f16 v1, v95, v12
	v_add_f16_e32 v154, v98, v153
	v_sub_f16_e32 v98, v98, v153
	v_mul_f16_e32 v153, 0xbaee, v146
	v_mul_f16_e32 v146, 0.5, v146
	ds_write2_b32 v163, v0, v1 offset0:40 offset1:50
	v_pack_b32_f16 v0, v18, v189
	v_pack_b32_f16 v1, v152, v147
	v_add_f16_e32 v23, v23, v155
	v_add_f16_e32 v148, v148, v157
	v_fma_f16 v153, v151, 0.5, v153
	v_fma_f16 v146, v151, s2, v146
	ds_write2_b32 v164, v0, v1 offset1:10
	v_pack_b32_f16 v0, v154, v106
	v_pack_b32_f16 v1, v13, v99
	v_add_f16_e32 v22, v17, v23
	v_add_f16_e32 v155, v108, v153
	;; [unrolled: 1-line block ×4, first 2 shown]
	ds_write2_b32 v164, v0, v1 offset0:20 offset1:30
	v_pack_b32_f16 v0, v19, v102
	v_pack_b32_f16 v1, v98, v16
	v_add_f16_e32 v157, v103, v156
	v_sub_f16_e32 v17, v17, v23
	v_sub_f16_e32 v107, v107, v148
	ds_write2_b32 v164, v0, v1 offset0:40 offset1:50
	v_pack_b32_f16 v0, v22, v190
	v_pack_b32_f16 v1, v155, v151
	v_sub_f16_e32 v23, v108, v153
	v_sub_f16_e32 v103, v103, v156
	v_sub_f16_e32 v108, v109, v146
	ds_write2_b32 v165, v0, v1 offset1:10
	v_pack_b32_f16 v0, v157, v145
	v_pack_b32_f16 v1, v17, v107
	ds_write2_b32 v165, v0, v1 offset0:20 offset1:30
	v_pack_b32_f16 v0, v23, v108
	v_pack_b32_f16 v1, v103, v20
	ds_write2_b32 v165, v0, v1 offset0:40 offset1:50
	s_waitcnt lgkmcnt(0)
	; wave barrier
	s_waitcnt lgkmcnt(0)
	ds_read2_b32 v[0:1], v111 offset1:60
	ds_read2_b32 v[2:3], v75 offset0:104 offset1:164
	ds_read2_b32 v[4:5], v74 offset0:80 offset1:140
	;; [unrolled: 1-line block ×5, first 2 shown]
	s_waitcnt lgkmcnt(4)
	v_lshrrev_b32_e32 v95, 16, v2
	v_mul_f16_sdwa v165, v24, v95 dst_sel:DWORD dst_unused:UNUSED_PAD src0_sel:WORD_1 src1_sel:DWORD
	s_waitcnt lgkmcnt(3)
	v_lshrrev_b32_e32 v96, 16, v4
	v_fma_f16 v165, v24, v2, v165
	v_mul_f16_sdwa v2, v24, v2 dst_sel:DWORD dst_unused:UNUSED_PAD src0_sel:WORD_1 src1_sel:DWORD
	v_fma_f16 v2, v24, v95, -v2
	v_mul_f16_sdwa v95, v25, v96 dst_sel:DWORD dst_unused:UNUSED_PAD src0_sel:WORD_1 src1_sel:DWORD
	s_waitcnt lgkmcnt(2)
	v_lshrrev_b32_e32 v97, 16, v6
	v_fma_f16 v95, v25, v4, v95
	v_mul_f16_sdwa v4, v25, v4 dst_sel:DWORD dst_unused:UNUSED_PAD src0_sel:WORD_1 src1_sel:DWORD
	v_fma_f16 v4, v25, v96, -v4
	;; [unrolled: 6-line block ×4, first 2 shown]
	v_mul_f16_sdwa v98, v161, v99 dst_sel:DWORD dst_unused:UNUSED_PAD src0_sel:WORD_1 src1_sel:DWORD
	v_lshrrev_b32_e32 v101, 16, v3
	v_fma_f16 v98, v161, v10, v98
	v_mul_f16_sdwa v10, v161, v10 dst_sel:DWORD dst_unused:UNUSED_PAD src0_sel:WORD_1 src1_sel:DWORD
	v_fma_f16 v10, v161, v99, -v10
	v_mul_f16_sdwa v99, v24, v101 dst_sel:DWORD dst_unused:UNUSED_PAD src0_sel:WORD_1 src1_sel:DWORD
	v_lshrrev_b32_e32 v102, 16, v5
	v_fma_f16 v99, v24, v3, v99
	v_mul_f16_sdwa v3, v24, v3 dst_sel:DWORD dst_unused:UNUSED_PAD src0_sel:WORD_1 src1_sel:DWORD
	v_fma_f16 v3, v24, v101, -v3
	;; [unrolled: 5-line block ×3, first 2 shown]
	v_mul_f16_sdwa v25, v26, v103 dst_sel:DWORD dst_unused:UNUSED_PAD src0_sel:WORD_1 src1_sel:DWORD
	ds_read2_b32 v[12:13], v111 offset0:120 offset1:180
	v_lshrrev_b32_e32 v104, 16, v9
	ds_read2_b32 v[14:15], v81 offset0:96 offset1:156
	ds_read2_b32 v[16:17], v78 offset0:72 offset1:132
	;; [unrolled: 1-line block ×5, first 2 shown]
	v_fma_f16 v25, v26, v7, v25
	v_mul_f16_sdwa v7, v26, v7 dst_sel:DWORD dst_unused:UNUSED_PAD src0_sel:WORD_1 src1_sel:DWORD
	s_waitcnt lgkmcnt(4)
	v_lshrrev_b32_e32 v107, 16, v14
	v_fma_f16 v7, v26, v103, -v7
	v_mul_f16_sdwa v26, v27, v104 dst_sel:DWORD dst_unused:UNUSED_PAD src0_sel:WORD_1 src1_sel:DWORD
	v_lshrrev_b32_e32 v105, 16, v11
	v_fma_f16 v26, v27, v9, v26
	v_mul_f16_sdwa v9, v27, v9 dst_sel:DWORD dst_unused:UNUSED_PAD src0_sel:WORD_1 src1_sel:DWORD
	v_mul_f16_sdwa v101, v28, v107 dst_sel:DWORD dst_unused:UNUSED_PAD src0_sel:WORD_1 src1_sel:DWORD
	s_waitcnt lgkmcnt(3)
	v_lshrrev_b32_e32 v108, 16, v16
	v_fma_f16 v9, v27, v104, -v9
	v_mul_f16_sdwa v27, v161, v105 dst_sel:DWORD dst_unused:UNUSED_PAD src0_sel:WORD_1 src1_sel:DWORD
	v_fma_f16 v101, v28, v14, v101
	v_mul_f16_sdwa v14, v28, v14 dst_sel:DWORD dst_unused:UNUSED_PAD src0_sel:WORD_1 src1_sel:DWORD
	v_fma_f16 v27, v161, v11, v27
	v_mul_f16_sdwa v11, v161, v11 dst_sel:DWORD dst_unused:UNUSED_PAD src0_sel:WORD_1 src1_sel:DWORD
	v_fma_f16 v14, v28, v107, -v14
	v_mul_f16_sdwa v28, v29, v108 dst_sel:DWORD dst_unused:UNUSED_PAD src0_sel:WORD_1 src1_sel:DWORD
	v_add_f16_e32 v107, v95, v97
	v_lshrrev_b32_e32 v94, 16, v0
	v_fma_f16 v11, v161, v105, -v11
	v_fma_f16 v28, v29, v16, v28
	v_mul_f16_sdwa v16, v29, v16 dst_sel:DWORD dst_unused:UNUSED_PAD src0_sel:WORD_1 src1_sel:DWORD
	v_add_f16_e32 v105, v0, v95
	v_fma_f16 v0, v107, -0.5, v0
	v_sub_f16_e32 v107, v4, v8
	s_waitcnt lgkmcnt(2)
	v_lshrrev_b32_e32 v109, 16, v18
	v_fma_f16 v16, v29, v108, -v16
	v_fma_f16 v108, v107, s3, v0
	v_fma_f16 v0, v107, s2, v0
	v_add_f16_e32 v107, v94, v4
	v_mul_f16_sdwa v29, v30, v109 dst_sel:DWORD dst_unused:UNUSED_PAD src0_sel:WORD_1 src1_sel:DWORD
	v_add_f16_e32 v107, v107, v8
	v_add_f16_e32 v4, v4, v8
	v_sub_f16_e32 v8, v95, v97
	v_add_f16_e32 v95, v96, v98
	v_fma_f16 v29, v30, v18, v29
	v_mul_f16_sdwa v18, v30, v18 dst_sel:DWORD dst_unused:UNUSED_PAD src0_sel:WORD_1 src1_sel:DWORD
	v_add_f16_e32 v105, v105, v97
	v_fma_f16 v95, v95, -0.5, v165
	v_sub_f16_e32 v97, v6, v10
	v_fma_f16 v18, v30, v109, -v18
	v_fma_f16 v109, v97, s3, v95
	v_fma_f16 v95, v97, s2, v95
	v_add_f16_e32 v97, v2, v6
	v_add_f16_e32 v6, v6, v10
	s_waitcnt lgkmcnt(1)
	v_lshrrev_b32_e32 v110, 16, v20
	v_fma_f16 v2, v6, -0.5, v2
	v_sub_f16_e32 v6, v96, v98
	v_mul_f16_sdwa v30, v31, v110 dst_sel:DWORD dst_unused:UNUSED_PAD src0_sel:WORD_1 src1_sel:DWORD
	v_fma_f16 v4, v4, -0.5, v94
	v_add_f16_e32 v97, v97, v10
	v_fma_f16 v10, v6, s2, v2
	v_fma_f16 v30, v31, v20, v30
	v_mul_f16_sdwa v20, v31, v20 dst_sel:DWORD dst_unused:UNUSED_PAD src0_sel:WORD_1 src1_sel:DWORD
	v_fma_f16 v94, v8, s2, v4
	v_fma_f16 v4, v8, s3, v4
	v_add_f16_e32 v8, v165, v96
	v_fma_f16 v2, v6, s3, v2
	v_mul_f16_e32 v96, 0xbaee, v10
	v_mul_f16_e32 v10, 0.5, v10
	v_fma_f16 v20, v31, v110, -v20
	v_mul_f16_e32 v110, 0xbaee, v2
	v_fma_f16 v10, v109, s2, v10
	v_mul_f16_e32 v2, -0.5, v2
	v_fma_f16 v96, v109, 0.5, v96
	v_add_f16_e32 v109, v94, v10
	v_fma_f16 v2, v95, s2, v2
	v_sub_f16_e32 v10, v94, v10
	v_add_f16_e32 v94, v24, v26
	v_lshrrev_b32_e32 v100, 16, v1
	v_add_f16_e32 v8, v8, v98
	v_fma_f16 v110, v95, -0.5, v110
	v_add_f16_e32 v95, v4, v2
	v_sub_f16_e32 v2, v4, v2
	v_add_f16_e32 v4, v1, v24
	v_fma_f16 v1, v94, -0.5, v1
	v_sub_f16_e32 v94, v5, v9
	v_add_f16_e32 v6, v105, v8
	v_sub_f16_e32 v8, v105, v8
	v_fma_f16 v105, v94, s3, v1
	v_fma_f16 v1, v94, s2, v1
	v_add_f16_e32 v94, v100, v5
	v_add_f16_e32 v5, v5, v9
	;; [unrolled: 1-line block ×4, first 2 shown]
	v_fma_f16 v5, v5, -0.5, v100
	v_sub_f16_e32 v9, v24, v26
	v_add_f16_e32 v26, v25, v27
	v_fma_f16 v24, v9, s2, v5
	v_fma_f16 v5, v9, s3, v5
	v_add_f16_e32 v9, v99, v25
	v_fma_f16 v26, v26, -0.5, v99
	v_sub_f16_e32 v99, v7, v11
	v_fma_f16 v100, v99, s3, v26
	v_fma_f16 v26, v99, s2, v26
	v_add_f16_e32 v99, v3, v7
	v_add_f16_e32 v7, v7, v11
	v_lshrrev_b32_e32 v147, 16, v15
	v_fma_f16 v3, v7, -0.5, v3
	v_sub_f16_e32 v7, v25, v27
	v_mul_f16_sdwa v102, v32, v147 dst_sel:DWORD dst_unused:UNUSED_PAD src0_sel:WORD_1 src1_sel:DWORD
	v_add_f16_e32 v99, v99, v11
	v_fma_f16 v11, v7, s2, v3
	v_fma_f16 v102, v32, v15, v102
	v_mul_f16_sdwa v15, v32, v15 dst_sel:DWORD dst_unused:UNUSED_PAD src0_sel:WORD_1 src1_sel:DWORD
	v_fma_f16 v3, v7, s3, v3
	v_mul_f16_e32 v25, 0xbaee, v11
	v_mul_f16_e32 v11, 0.5, v11
	s_waitcnt lgkmcnt(0)
	v_lshrrev_b32_e32 v145, 16, v22
	v_fma_f16 v15, v32, v147, -v15
	v_add_f16_e32 v147, v107, v97
	v_sub_f16_e32 v97, v107, v97
	v_mul_f16_e32 v107, 0xbaee, v3
	v_fma_f16 v11, v100, s2, v11
	v_mul_f16_e32 v3, -0.5, v3
	v_mul_f16_sdwa v31, v166, v145 dst_sel:DWORD dst_unused:UNUSED_PAD src0_sel:WORD_1 src1_sel:DWORD
	v_fma_f16 v25, v100, 0.5, v25
	v_add_f16_e32 v100, v24, v11
	v_fma_f16 v3, v26, s2, v3
	v_sub_f16_e32 v11, v24, v11
	v_add_f16_e32 v24, v28, v30
	v_lshrrev_b32_e32 v106, 16, v12
	v_fma_f16 v31, v166, v22, v31
	v_mul_f16_sdwa v22, v166, v22 dst_sel:DWORD dst_unused:UNUSED_PAD src0_sel:WORD_1 src1_sel:DWORD
	v_add_f16_e32 v9, v9, v27
	v_fma_f16 v107, v26, -0.5, v107
	v_add_f16_e32 v26, v5, v3
	v_sub_f16_e32 v3, v5, v3
	v_add_f16_e32 v5, v12, v28
	v_fma_f16 v12, v24, -0.5, v12
	v_sub_f16_e32 v24, v16, v20
	v_fma_f16 v22, v166, v145, -v22
	v_add_f16_e32 v145, v0, v110
	v_sub_f16_e32 v0, v0, v110
	v_add_f16_e32 v7, v4, v9
	v_add_f16_e32 v27, v105, v25
	;; [unrolled: 1-line block ×3, first 2 shown]
	v_sub_f16_e32 v4, v4, v9
	v_sub_f16_e32 v9, v105, v25
	v_sub_f16_e32 v25, v94, v99
	v_fma_f16 v94, v24, s3, v12
	v_fma_f16 v12, v24, s2, v12
	v_add_f16_e32 v24, v106, v16
	v_lshrrev_b32_e32 v148, 16, v17
	v_add_f16_e32 v5, v5, v30
	v_add_f16_e32 v24, v24, v20
	;; [unrolled: 1-line block ×3, first 2 shown]
	v_sub_f16_e32 v20, v28, v30
	v_add_f16_e32 v30, v29, v31
	v_mul_f16_sdwa v32, v33, v148 dst_sel:DWORD dst_unused:UNUSED_PAD src0_sel:WORD_1 src1_sel:DWORD
	v_fma_f16 v16, v16, -0.5, v106
	v_fma_f16 v30, v30, -0.5, v101
	v_sub_f16_e32 v99, v18, v22
	v_lshrrev_b32_e32 v149, 16, v19
	v_fma_f16 v32, v33, v17, v32
	v_mul_f16_sdwa v17, v33, v17 dst_sel:DWORD dst_unused:UNUSED_PAD src0_sel:WORD_1 src1_sel:DWORD
	v_fma_f16 v28, v20, s2, v16
	v_fma_f16 v16, v20, s3, v16
	v_add_f16_e32 v20, v101, v29
	v_fma_f16 v101, v99, s3, v30
	v_fma_f16 v30, v99, s2, v30
	v_add_f16_e32 v99, v14, v18
	v_add_f16_e32 v18, v18, v22
	v_fma_f16 v17, v33, v148, -v17
	v_mul_f16_sdwa v33, v34, v149 dst_sel:DWORD dst_unused:UNUSED_PAD src0_sel:WORD_1 src1_sel:DWORD
	v_fma_f16 v14, v18, -0.5, v14
	v_sub_f16_e32 v18, v29, v31
	v_lshrrev_b32_e32 v150, 16, v21
	v_fma_f16 v33, v34, v19, v33
	v_mul_f16_sdwa v19, v34, v19 dst_sel:DWORD dst_unused:UNUSED_PAD src0_sel:WORD_1 src1_sel:DWORD
	v_add_f16_e32 v99, v99, v22
	v_fma_f16 v22, v18, s2, v14
	v_fma_f16 v19, v34, v149, -v19
	v_mul_f16_sdwa v34, v35, v150 dst_sel:DWORD dst_unused:UNUSED_PAD src0_sel:WORD_1 src1_sel:DWORD
	v_fma_f16 v14, v18, s3, v14
	v_mul_f16_e32 v29, 0xbaee, v22
	v_mul_f16_e32 v22, 0.5, v22
	v_fma_f16 v34, v35, v21, v34
	v_mul_f16_sdwa v21, v35, v21 dst_sel:DWORD dst_unused:UNUSED_PAD src0_sel:WORD_1 src1_sel:DWORD
	v_mul_f16_e32 v105, 0xbaee, v14
	v_fma_f16 v22, v101, s2, v22
	v_mul_f16_e32 v14, -0.5, v14
	ds_read2_b32 v[82:83], v80 offset0:112 offset1:172
	v_lshrrev_b32_e32 v151, 16, v23
	ds_read2_b32 v[84:85], v79 offset0:88 offset1:148
	ds_read2_b32 v[86:87], v78 offset0:192 offset1:252
	;; [unrolled: 1-line block ×5, first 2 shown]
	v_fma_f16 v21, v35, v150, -v21
	v_fma_f16 v29, v101, 0.5, v29
	v_add_f16_e32 v101, v28, v22
	v_fma_f16 v14, v30, s2, v14
	v_sub_f16_e32 v22, v28, v22
	v_add_f16_e32 v28, v32, v34
	v_lshrrev_b32_e32 v146, 16, v13
	s_waitcnt lgkmcnt(4)
	v_lshrrev_b32_e32 v153, 16, v84
	v_mul_f16_sdwa v35, v167, v151 dst_sel:DWORD dst_unused:UNUSED_PAD src0_sel:WORD_1 src1_sel:DWORD
	v_add_f16_e32 v20, v20, v31
	v_fma_f16 v105, v30, -0.5, v105
	v_add_f16_e32 v30, v16, v14
	v_sub_f16_e32 v14, v16, v14
	v_add_f16_e32 v16, v13, v32
	v_fma_f16 v13, v28, -0.5, v13
	v_sub_f16_e32 v28, v17, v21
	v_fma_f16 v35, v167, v23, v35
	v_mul_f16_sdwa v23, v167, v23 dst_sel:DWORD dst_unused:UNUSED_PAD src0_sel:WORD_1 src1_sel:DWORD
	v_mul_f16_sdwa v103, v36, v153 dst_sel:DWORD dst_unused:UNUSED_PAD src0_sel:WORD_1 src1_sel:DWORD
	v_add_f16_e32 v18, v5, v20
	v_add_f16_e32 v31, v94, v29
	v_sub_f16_e32 v5, v5, v20
	v_sub_f16_e32 v20, v94, v29
	v_fma_f16 v29, v28, s3, v13
	v_fma_f16 v13, v28, s2, v13
	v_add_f16_e32 v28, v146, v17
	s_waitcnt lgkmcnt(3)
	v_lshrrev_b32_e32 v154, 16, v86
	v_fma_f16 v23, v167, v151, -v23
	v_fma_f16 v103, v36, v84, v103
	v_mul_f16_sdwa v84, v36, v84 dst_sel:DWORD dst_unused:UNUSED_PAD src0_sel:WORD_1 src1_sel:DWORD
	v_add_f16_e32 v16, v16, v34
	v_add_f16_e32 v28, v28, v21
	;; [unrolled: 1-line block ×3, first 2 shown]
	v_sub_f16_e32 v21, v32, v34
	v_add_f16_e32 v34, v33, v35
	v_fma_f16 v36, v36, v153, -v84
	v_mul_f16_sdwa v84, v37, v154 dst_sel:DWORD dst_unused:UNUSED_PAD src0_sel:WORD_1 src1_sel:DWORD
	v_fma_f16 v34, v34, -0.5, v102
	v_sub_f16_e32 v94, v19, v23
	s_waitcnt lgkmcnt(2)
	v_lshrrev_b32_e32 v155, 16, v88
	v_fma_f16 v84, v37, v86, v84
	v_mul_f16_sdwa v86, v37, v86 dst_sel:DWORD dst_unused:UNUSED_PAD src0_sel:WORD_1 src1_sel:DWORD
	v_add_f16_e32 v98, v108, v96
	v_sub_f16_e32 v96, v108, v96
	v_add_f16_e32 v108, v1, v107
	v_sub_f16_e32 v1, v1, v107
	;; [unrolled: 2-line block ×3, first 2 shown]
	v_fma_f16 v99, v94, s3, v34
	v_fma_f16 v34, v94, s2, v34
	v_add_f16_e32 v94, v15, v19
	v_add_f16_e32 v19, v19, v23
	v_fma_f16 v37, v37, v154, -v86
	v_mul_f16_sdwa v86, v38, v155 dst_sel:DWORD dst_unused:UNUSED_PAD src0_sel:WORD_1 src1_sel:DWORD
	v_fma_f16 v15, v19, -0.5, v15
	v_sub_f16_e32 v19, v33, v35
	s_waitcnt lgkmcnt(1)
	v_lshrrev_b32_e32 v156, 16, v90
	v_fma_f16 v86, v38, v88, v86
	v_mul_f16_sdwa v88, v38, v88 dst_sel:DWORD dst_unused:UNUSED_PAD src0_sel:WORD_1 src1_sel:DWORD
	v_fma_f16 v17, v17, -0.5, v146
	v_add_f16_e32 v94, v94, v23
	v_fma_f16 v23, v19, s2, v15
	v_fma_f16 v38, v38, v155, -v88
	v_mul_f16_sdwa v88, v39, v156 dst_sel:DWORD dst_unused:UNUSED_PAD src0_sel:WORD_1 src1_sel:DWORD
	v_fma_f16 v32, v21, s2, v17
	v_fma_f16 v17, v21, s3, v17
	v_add_f16_e32 v21, v102, v33
	v_mul_f16_e32 v33, 0xbaee, v23
	v_fma_f16 v88, v39, v90, v88
	v_mul_f16_sdwa v90, v39, v90 dst_sel:DWORD dst_unused:UNUSED_PAD src0_sel:WORD_1 src1_sel:DWORD
	v_add_f16_e32 v21, v21, v35
	v_fma_f16 v33, v99, 0.5, v33
	v_mul_f16_e32 v23, 0.5, v23
	s_waitcnt lgkmcnt(0)
	v_lshrrev_b32_e32 v157, 16, v92
	v_fma_f16 v39, v39, v156, -v90
	v_fma_f16 v15, v19, s3, v15
	v_add_f16_e32 v19, v16, v21
	v_add_f16_e32 v35, v29, v33
	v_fma_f16 v23, v99, s2, v23
	v_sub_f16_e32 v16, v16, v21
	v_sub_f16_e32 v21, v29, v33
	v_add_f16_e32 v29, v84, v88
	v_lshrrev_b32_e32 v152, 16, v82
	v_lshrrev_b32_e32 v159, 16, v85
	v_mul_f16_sdwa v90, v168, v157 dst_sel:DWORD dst_unused:UNUSED_PAD src0_sel:WORD_1 src1_sel:DWORD
	v_mul_f16_e32 v102, 0xbaee, v15
	v_add_f16_e32 v99, v32, v23
	v_mul_f16_e32 v15, -0.5, v15
	v_sub_f16_e32 v23, v32, v23
	v_fma_f16 v29, v29, -0.5, v82
	v_sub_f16_e32 v32, v37, v39
	v_fma_f16 v90, v168, v92, v90
	v_mul_f16_sdwa v92, v168, v92 dst_sel:DWORD dst_unused:UNUSED_PAD src0_sel:WORD_1 src1_sel:DWORD
	v_mul_f16_sdwa v104, v40, v159 dst_sel:DWORD dst_unused:UNUSED_PAD src0_sel:WORD_1 src1_sel:DWORD
	v_fma_f16 v15, v34, s2, v15
	v_fma_f16 v33, v32, s3, v29
	;; [unrolled: 1-line block ×3, first 2 shown]
	v_add_f16_e32 v32, v152, v37
	v_lshrrev_b32_e32 v160, 16, v87
	v_fma_f16 v92, v168, v157, -v92
	v_fma_f16 v104, v40, v85, v104
	v_mul_f16_sdwa v85, v40, v85 dst_sel:DWORD dst_unused:UNUSED_PAD src0_sel:WORD_1 src1_sel:DWORD
	v_fma_f16 v102, v34, -0.5, v102
	v_add_f16_e32 v34, v17, v15
	v_sub_f16_e32 v15, v17, v15
	v_add_f16_e32 v17, v82, v84
	v_add_f16_e32 v32, v32, v39
	;; [unrolled: 1-line block ×3, first 2 shown]
	v_sub_f16_e32 v39, v84, v88
	v_add_f16_e32 v84, v86, v90
	v_fma_f16 v40, v40, v159, -v85
	v_mul_f16_sdwa v85, v41, v160 dst_sel:DWORD dst_unused:UNUSED_PAD src0_sel:WORD_1 src1_sel:DWORD
	v_add_f16_e32 v17, v17, v88
	v_fma_f16 v84, v84, -0.5, v103
	v_sub_f16_e32 v88, v38, v92
	v_lshrrev_b32_e32 v162, 16, v89
	v_fma_f16 v85, v41, v87, v85
	v_mul_f16_sdwa v87, v41, v87 dst_sel:DWORD dst_unused:UNUSED_PAD src0_sel:WORD_1 src1_sel:DWORD
	v_add_f16_e32 v146, v28, v94
	v_sub_f16_e32 v28, v28, v94
	v_fma_f16 v94, v88, s3, v84
	v_fma_f16 v84, v88, s2, v84
	v_add_f16_e32 v88, v36, v38
	v_add_f16_e32 v38, v38, v92
	v_fma_f16 v41, v41, v160, -v87
	v_mul_f16_sdwa v87, v42, v162 dst_sel:DWORD dst_unused:UNUSED_PAD src0_sel:WORD_1 src1_sel:DWORD
	v_fma_f16 v37, v37, -0.5, v152
	v_fma_f16 v36, v38, -0.5, v36
	v_sub_f16_e32 v38, v86, v90
	v_lshrrev_b32_e32 v163, 16, v91
	v_fma_f16 v87, v42, v89, v87
	v_mul_f16_sdwa v89, v42, v89 dst_sel:DWORD dst_unused:UNUSED_PAD src0_sel:WORD_1 src1_sel:DWORD
	v_fma_f16 v82, v39, s2, v37
	v_fma_f16 v37, v39, s3, v37
	v_add_f16_e32 v39, v103, v86
	v_fma_f16 v86, v38, s2, v36
	v_fma_f16 v42, v42, v162, -v89
	v_mul_f16_sdwa v89, v43, v163 dst_sel:DWORD dst_unused:UNUSED_PAD src0_sel:WORD_1 src1_sel:DWORD
	v_add_f16_e32 v39, v39, v90
	v_fma_f16 v36, v38, s3, v36
	v_mul_f16_e32 v90, 0xbaee, v86
	v_mul_f16_e32 v86, 0.5, v86
	v_lshrrev_b32_e32 v164, 16, v93
	v_fma_f16 v89, v43, v91, v89
	v_mul_f16_sdwa v91, v43, v91 dst_sel:DWORD dst_unused:UNUSED_PAD src0_sel:WORD_1 src1_sel:DWORD
	v_add_f16_e32 v106, v12, v105
	v_sub_f16_e32 v12, v12, v105
	v_add_f16_e32 v105, v13, v102
	v_sub_f16_e32 v13, v13, v102
	v_mul_f16_e32 v102, 0xbaee, v36
	v_fma_f16 v86, v94, s2, v86
	v_mul_f16_e32 v36, -0.5, v36
	v_fma_f16 v43, v43, v163, -v91
	v_mul_f16_sdwa v91, v169, v164 dst_sel:DWORD dst_unused:UNUSED_PAD src0_sel:WORD_1 src1_sel:DWORD
	v_add_f16_e32 v38, v17, v39
	v_fma_f16 v90, v94, 0.5, v90
	v_add_f16_e32 v94, v82, v86
	v_fma_f16 v36, v84, s2, v36
	v_sub_f16_e32 v17, v17, v39
	v_sub_f16_e32 v39, v82, v86
	v_add_f16_e32 v82, v85, v89
	v_lshrrev_b32_e32 v158, 16, v83
	v_fma_f16 v91, v169, v93, v91
	v_mul_f16_sdwa v93, v169, v93 dst_sel:DWORD dst_unused:UNUSED_PAD src0_sel:WORD_1 src1_sel:DWORD
	v_add_f16_e32 v88, v88, v92
	v_fma_f16 v102, v84, -0.5, v102
	v_add_f16_e32 v84, v37, v36
	v_sub_f16_e32 v36, v37, v36
	v_add_f16_e32 v37, v83, v85
	v_fma_f16 v82, v82, -0.5, v83
	v_sub_f16_e32 v83, v41, v43
	v_fma_f16 v93, v169, v164, -v93
	v_add_f16_e32 v148, v32, v88
	v_sub_f16_e32 v32, v32, v88
	v_fma_f16 v86, v83, s3, v82
	v_fma_f16 v82, v83, s2, v82
	v_add_f16_e32 v83, v158, v41
	v_add_f16_e32 v88, v87, v91
	;; [unrolled: 1-line block ×5, first 2 shown]
	v_sub_f16_e32 v43, v85, v89
	v_fma_f16 v88, v88, -0.5, v104
	v_sub_f16_e32 v89, v42, v93
	v_add_f16_e32 v92, v33, v90
	v_sub_f16_e32 v33, v33, v90
	v_fma_f16 v90, v89, s3, v88
	v_fma_f16 v88, v89, s2, v88
	v_add_f16_e32 v89, v40, v42
	v_add_f16_e32 v42, v42, v93
	v_fma_f16 v41, v41, -0.5, v158
	v_fma_f16 v40, v42, -0.5, v40
	v_sub_f16_e32 v42, v87, v91
	v_fma_f16 v85, v43, s2, v41
	v_fma_f16 v41, v43, s3, v41
	v_add_f16_e32 v43, v104, v87
	v_fma_f16 v87, v42, s2, v40
	v_fma_f16 v40, v42, s3, v40
	v_add_f16_e32 v103, v29, v102
	v_sub_f16_e32 v29, v29, v102
	v_mul_f16_e32 v102, 0xbaee, v40
	v_mul_f16_e32 v40, -0.5, v40
	v_fma_f16 v40, v88, s2, v40
	v_fma_f16 v102, v88, -0.5, v102
	v_add_f16_e32 v88, v41, v40
	v_sub_f16_e32 v40, v41, v40
	v_pack_b32_f16 v6, v6, v147
	v_pack_b32_f16 v41, v98, v109
	s_waitcnt lgkmcnt(0)
	; wave barrier
	ds_write2_b32 v111, v6, v41 offset1:60
	v_pack_b32_f16 v6, v145, v95
	v_pack_b32_f16 v8, v8, v97
	ds_write2_b32 v111, v6, v8 offset0:120 offset1:180
	v_pack_b32_f16 v6, v96, v10
	v_pack_b32_f16 v0, v0, v2
	ds_write2_b32 v80, v6, v0 offset0:112 offset1:172
	;; [unrolled: 3-line block ×5, first 2 shown]
	v_pack_b32_f16 v0, v18, v107
	v_pack_b32_f16 v1, v31, v101
	v_add_u32_e32 v2, 0xa00, v172
	ds_write2_b32 v2, v0, v1 offset0:80 offset1:140
	v_pack_b32_f16 v0, v106, v30
	v_pack_b32_f16 v1, v5, v24
	v_add_u32_e32 v2, 0xc00, v172
	ds_write2_b32 v2, v0, v1 offset0:72 offset1:132
	v_pack_b32_f16 v0, v20, v22
	v_pack_b32_f16 v1, v12, v14
	ds_write2_b32 v2, v0, v1 offset0:192 offset1:252
	v_pack_b32_f16 v0, v19, v146
	v_pack_b32_f16 v1, v35, v99
	v_add_u32_e32 v2, 0x1000, v171
	ds_write2_b32 v2, v0, v1 offset0:56 offset1:116
	v_pack_b32_f16 v0, v105, v34
	v_pack_b32_f16 v1, v16, v28
	ds_write2_b32 v2, v0, v1 offset0:176 offset1:236
	v_pack_b32_f16 v0, v21, v23
	v_pack_b32_f16 v1, v13, v15
	v_add_u32_e32 v2, 0x1400, v171
	v_add_f16_e32 v43, v43, v91
	v_mul_f16_e32 v91, 0xbaee, v87
	v_mul_f16_e32 v87, 0.5, v87
	ds_write2_b32 v2, v0, v1 offset0:40 offset1:100
	v_pack_b32_f16 v0, v38, v148
	v_pack_b32_f16 v1, v92, v94
	v_add_u32_e32 v2, 0x1400, v174
	v_add_f16_e32 v89, v89, v93
	v_fma_f16 v91, v90, 0.5, v91
	v_fma_f16 v87, v90, s2, v87
	ds_write2_b32 v2, v0, v1 offset0:160 offset1:220
	v_pack_b32_f16 v0, v103, v84
	v_pack_b32_f16 v1, v17, v32
	v_add_u32_e32 v2, 0x1800, v174
	v_add_f16_e32 v42, v37, v43
	v_add_f16_e32 v93, v86, v91
	;; [unrolled: 1-line block ×4, first 2 shown]
	ds_write2_b32 v2, v0, v1 offset0:24 offset1:84
	v_pack_b32_f16 v0, v33, v39
	v_pack_b32_f16 v1, v29, v36
	v_add_f16_e32 v104, v82, v102
	v_sub_f16_e32 v37, v37, v43
	v_sub_f16_e32 v83, v83, v89
	ds_write2_b32 v2, v0, v1 offset0:144 offset1:204
	v_pack_b32_f16 v0, v42, v149
	v_pack_b32_f16 v1, v93, v90
	v_add_u32_e32 v2, 0x1c00, v173
	v_sub_f16_e32 v43, v86, v91
	v_sub_f16_e32 v82, v82, v102
	;; [unrolled: 1-line block ×3, first 2 shown]
	ds_write2_b32 v2, v0, v1 offset0:8 offset1:68
	v_pack_b32_f16 v0, v104, v88
	v_pack_b32_f16 v1, v37, v83
	ds_write2_b32 v2, v0, v1 offset0:128 offset1:188
	v_pack_b32_f16 v0, v43, v85
	v_pack_b32_f16 v1, v82, v40
	v_add_u32_e32 v2, 0x1e00, v173
	ds_write2_b32 v2, v0, v1 offset0:120 offset1:180
	s_waitcnt lgkmcnt(0)
	; wave barrier
	s_waitcnt lgkmcnt(0)
	ds_read2_b32 v[0:1], v111 offset1:60
	ds_read2_b32 v[2:3], v75 offset0:104 offset1:164
	ds_read2_b32 v[4:5], v74 offset0:80 offset1:140
	;; [unrolled: 1-line block ×5, first 2 shown]
	s_waitcnt lgkmcnt(4)
	v_lshrrev_b32_e32 v37, 16, v2
	v_mul_f16_sdwa v109, v44, v37 dst_sel:DWORD dst_unused:UNUSED_PAD src0_sel:WORD_1 src1_sel:DWORD
	s_waitcnt lgkmcnt(3)
	v_lshrrev_b32_e32 v38, 16, v4
	v_fma_f16 v109, v44, v2, v109
	v_mul_f16_sdwa v2, v44, v2 dst_sel:DWORD dst_unused:UNUSED_PAD src0_sel:WORD_1 src1_sel:DWORD
	v_fma_f16 v2, v44, v37, -v2
	v_mul_f16_sdwa v37, v45, v38 dst_sel:DWORD dst_unused:UNUSED_PAD src0_sel:WORD_1 src1_sel:DWORD
	s_waitcnt lgkmcnt(2)
	v_lshrrev_b32_e32 v39, 16, v6
	v_fma_f16 v37, v45, v4, v37
	v_mul_f16_sdwa v4, v45, v4 dst_sel:DWORD dst_unused:UNUSED_PAD src0_sel:WORD_1 src1_sel:DWORD
	v_fma_f16 v4, v45, v38, -v4
	;; [unrolled: 6-line block ×4, first 2 shown]
	v_mul_f16_sdwa v40, v170, v41 dst_sel:DWORD dst_unused:UNUSED_PAD src0_sel:WORD_1 src1_sel:DWORD
	v_lshrrev_b32_e32 v43, 16, v3
	ds_read2_b32 v[12:13], v111 offset0:120 offset1:180
	ds_read2_b32 v[14:15], v81 offset0:96 offset1:156
	;; [unrolled: 1-line block ×6, first 2 shown]
	v_fma_f16 v40, v170, v10, v40
	v_mul_f16_sdwa v10, v170, v10 dst_sel:DWORD dst_unused:UNUSED_PAD src0_sel:WORD_1 src1_sel:DWORD
	v_fma_f16 v10, v170, v41, -v10
	v_mul_f16_sdwa v41, v48, v43 dst_sel:DWORD dst_unused:UNUSED_PAD src0_sel:WORD_1 src1_sel:DWORD
	s_waitcnt lgkmcnt(3)
	v_lshrrev_b32_e32 v87, 16, v16
	v_fma_f16 v41, v48, v3, v41
	v_mul_f16_sdwa v3, v48, v3 dst_sel:DWORD dst_unused:UNUSED_PAD src0_sel:WORD_1 src1_sel:DWORD
	v_fma_f16 v3, v48, v43, -v3
	v_mul_f16_sdwa v48, v53, v87 dst_sel:DWORD dst_unused:UNUSED_PAD src0_sel:WORD_1 src1_sel:DWORD
	ds_read2_b32 v[24:25], v80 offset0:112 offset1:172
	v_lshrrev_b32_e32 v93, 16, v17
	ds_read2_b32 v[26:27], v79 offset0:88 offset1:148
	ds_read2_b32 v[28:29], v78 offset0:192 offset1:252
	;; [unrolled: 1-line block ×5, first 2 shown]
	v_fma_f16 v48, v53, v16, v48
	v_mul_f16_sdwa v16, v53, v16 dst_sel:DWORD dst_unused:UNUSED_PAD src0_sel:WORD_1 src1_sel:DWORD
	v_fma_f16 v16, v53, v87, -v16
	v_mul_f16_sdwa v53, v57, v93 dst_sel:DWORD dst_unused:UNUSED_PAD src0_sel:WORD_1 src1_sel:DWORD
	s_waitcnt lgkmcnt(4)
	v_lshrrev_b32_e32 v98, 16, v26
	v_fma_f16 v53, v57, v17, v53
	v_mul_f16_sdwa v17, v57, v17 dst_sel:DWORD dst_unused:UNUSED_PAD src0_sel:WORD_1 src1_sel:DWORD
	v_fma_f16 v17, v57, v93, -v17
	v_mul_f16_sdwa v57, v60, v98 dst_sel:DWORD dst_unused:UNUSED_PAD src0_sel:WORD_1 src1_sel:DWORD
	s_waitcnt lgkmcnt(1)
	v_lshrrev_b32_e32 v101, 16, v32
	v_fma_f16 v57, v60, v26, v57
	v_mul_f16_sdwa v26, v60, v26 dst_sel:DWORD dst_unused:UNUSED_PAD src0_sel:WORD_1 src1_sel:DWORD
	v_fma_f16 v26, v60, v98, -v26
	v_mul_f16_sdwa v60, v63, v101 dst_sel:DWORD dst_unused:UNUSED_PAD src0_sel:WORD_1 src1_sel:DWORD
	v_lshrrev_b32_e32 v105, 16, v29
	v_fma_f16 v60, v63, v32, v60
	v_mul_f16_sdwa v32, v63, v32 dst_sel:DWORD dst_unused:UNUSED_PAD src0_sel:WORD_1 src1_sel:DWORD
	v_lshrrev_b32_e32 v81, 16, v14
	v_fma_f16 v32, v63, v101, -v32
	v_mul_f16_sdwa v63, v65, v105 dst_sel:DWORD dst_unused:UNUSED_PAD src0_sel:WORD_1 src1_sel:DWORD
	v_lshrrev_b32_e32 v107, 16, v33
	v_mul_f16_sdwa v47, v52, v81 dst_sel:DWORD dst_unused:UNUSED_PAD src0_sel:WORD_1 src1_sel:DWORD
	v_fma_f16 v63, v65, v29, v63
	v_mul_f16_sdwa v29, v65, v29 dst_sel:DWORD dst_unused:UNUSED_PAD src0_sel:WORD_1 src1_sel:DWORD
	v_lshrrev_b32_e32 v82, 16, v5
	v_fma_f16 v47, v52, v14, v47
	v_mul_f16_sdwa v14, v52, v14 dst_sel:DWORD dst_unused:UNUSED_PAD src0_sel:WORD_1 src1_sel:DWORD
	v_fma_f16 v29, v65, v105, -v29
	v_mul_f16_sdwa v65, v67, v107 dst_sel:DWORD dst_unused:UNUSED_PAD src0_sel:WORD_1 src1_sel:DWORD
	v_mul_f16_sdwa v43, v49, v82 dst_sel:DWORD dst_unused:UNUSED_PAD src0_sel:WORD_1 src1_sel:DWORD
	v_fma_f16 v14, v52, v81, -v14
	v_fma_f16 v65, v67, v33, v65
	v_mul_f16_sdwa v33, v67, v33 dst_sel:DWORD dst_unused:UNUSED_PAD src0_sel:WORD_1 src1_sel:DWORD
	v_add_f16_e32 v81, v37, v39
	v_lshrrev_b32_e32 v36, 16, v0
	v_fma_f16 v43, v49, v5, v43
	v_mul_f16_sdwa v5, v49, v5 dst_sel:DWORD dst_unused:UNUSED_PAD src0_sel:WORD_1 src1_sel:DWORD
	v_fma_f16 v33, v67, v107, -v33
	v_add_f16_e32 v67, v0, v37
	v_fma_f16 v0, v81, -0.5, v0
	v_sub_f16_e32 v81, v4, v8
	v_lshrrev_b32_e32 v83, 16, v7
	v_fma_f16 v5, v49, v82, -v5
	v_fma_f16 v82, v81, s3, v0
	v_fma_f16 v0, v81, s2, v0
	v_add_f16_e32 v81, v36, v4
	v_mul_f16_sdwa v44, v50, v83 dst_sel:DWORD dst_unused:UNUSED_PAD src0_sel:WORD_1 src1_sel:DWORD
	v_add_f16_e32 v81, v81, v8
	v_add_f16_e32 v4, v4, v8
	v_sub_f16_e32 v8, v37, v39
	v_add_f16_e32 v37, v38, v40
	v_fma_f16 v44, v50, v7, v44
	v_mul_f16_sdwa v7, v50, v7 dst_sel:DWORD dst_unused:UNUSED_PAD src0_sel:WORD_1 src1_sel:DWORD
	v_add_f16_e32 v67, v67, v39
	v_fma_f16 v37, v37, -0.5, v109
	v_sub_f16_e32 v39, v6, v10
	v_fma_f16 v7, v50, v83, -v7
	v_fma_f16 v83, v39, s3, v37
	v_fma_f16 v37, v39, s2, v37
	v_add_f16_e32 v39, v2, v6
	v_add_f16_e32 v6, v6, v10
	v_lshrrev_b32_e32 v84, 16, v9
	v_fma_f16 v2, v6, -0.5, v2
	v_sub_f16_e32 v6, v38, v40
	v_mul_f16_sdwa v45, v51, v84 dst_sel:DWORD dst_unused:UNUSED_PAD src0_sel:WORD_1 src1_sel:DWORD
	v_fma_f16 v4, v4, -0.5, v36
	v_add_f16_e32 v39, v39, v10
	v_fma_f16 v10, v6, s2, v2
	v_fma_f16 v45, v51, v9, v45
	v_mul_f16_sdwa v9, v51, v9 dst_sel:DWORD dst_unused:UNUSED_PAD src0_sel:WORD_1 src1_sel:DWORD
	v_fma_f16 v36, v8, s2, v4
	v_fma_f16 v4, v8, s3, v4
	v_add_f16_e32 v8, v109, v38
	v_fma_f16 v2, v6, s3, v2
	v_mul_f16_e32 v38, 0xbaee, v10
	v_mul_f16_e32 v10, 0.5, v10
	v_fma_f16 v9, v51, v84, -v9
	v_mul_f16_e32 v84, 0xbaee, v2
	v_fma_f16 v10, v83, s2, v10
	v_mul_f16_e32 v2, -0.5, v2
	v_lshrrev_b32_e32 v85, 16, v11
	v_fma_f16 v38, v83, 0.5, v38
	v_add_f16_e32 v83, v36, v10
	v_fma_f16 v2, v37, s2, v2
	v_sub_f16_e32 v10, v36, v10
	v_add_f16_e32 v36, v43, v45
	v_lshrrev_b32_e32 v42, 16, v1
	v_mul_f16_sdwa v46, v175, v85 dst_sel:DWORD dst_unused:UNUSED_PAD src0_sel:WORD_1 src1_sel:DWORD
	v_add_f16_e32 v8, v8, v40
	v_fma_f16 v84, v37, -0.5, v84
	v_add_f16_e32 v37, v4, v2
	v_sub_f16_e32 v2, v4, v2
	v_add_f16_e32 v4, v1, v43
	v_fma_f16 v1, v36, -0.5, v1
	v_sub_f16_e32 v36, v5, v9
	v_fma_f16 v46, v175, v11, v46
	v_mul_f16_sdwa v11, v175, v11 dst_sel:DWORD dst_unused:UNUSED_PAD src0_sel:WORD_1 src1_sel:DWORD
	v_add_f16_e32 v6, v67, v8
	v_sub_f16_e32 v8, v67, v8
	v_fma_f16 v67, v36, s3, v1
	v_fma_f16 v1, v36, s2, v1
	v_add_f16_e32 v36, v42, v5
	v_add_f16_e32 v5, v5, v9
	v_fma_f16 v11, v175, v85, -v11
	v_add_f16_e32 v36, v36, v9
	v_fma_f16 v5, v5, -0.5, v42
	v_sub_f16_e32 v9, v43, v45
	v_add_f16_e32 v43, v44, v46
	v_fma_f16 v42, v9, s2, v5
	v_fma_f16 v5, v9, s3, v5
	v_add_f16_e32 v9, v41, v44
	v_fma_f16 v41, v43, -0.5, v41
	v_sub_f16_e32 v43, v7, v11
	v_add_f16_e32 v4, v4, v45
	v_fma_f16 v45, v43, s3, v41
	v_fma_f16 v41, v43, s2, v41
	v_add_f16_e32 v43, v3, v7
	v_add_f16_e32 v7, v7, v11
	v_fma_f16 v3, v7, -0.5, v3
	v_sub_f16_e32 v7, v44, v46
	v_lshrrev_b32_e32 v89, 16, v20
	v_add_f16_e32 v43, v43, v11
	v_fma_f16 v11, v7, s2, v3
	v_mul_f16_sdwa v50, v55, v89 dst_sel:DWORD dst_unused:UNUSED_PAD src0_sel:WORD_1 src1_sel:DWORD
	v_fma_f16 v3, v7, s3, v3
	v_mul_f16_e32 v44, 0xbaee, v11
	v_mul_f16_e32 v11, 0.5, v11
	v_fma_f16 v50, v55, v20, v50
	v_mul_f16_sdwa v20, v55, v20 dst_sel:DWORD dst_unused:UNUSED_PAD src0_sel:WORD_1 src1_sel:DWORD
	v_add_f16_e32 v87, v81, v39
	v_sub_f16_e32 v39, v81, v39
	v_mul_f16_e32 v81, 0xbaee, v3
	v_fma_f16 v11, v45, s2, v11
	v_mul_f16_e32 v3, -0.5, v3
	v_lshrrev_b32_e32 v88, 16, v18
	v_lshrrev_b32_e32 v90, 16, v22
	v_fma_f16 v20, v55, v89, -v20
	v_fma_f16 v44, v45, 0.5, v44
	v_add_f16_e32 v45, v42, v11
	v_fma_f16 v3, v41, s2, v3
	v_sub_f16_e32 v11, v42, v11
	v_add_f16_e32 v42, v48, v50
	v_lshrrev_b32_e32 v86, 16, v12
	v_mul_f16_sdwa v49, v54, v88 dst_sel:DWORD dst_unused:UNUSED_PAD src0_sel:WORD_1 src1_sel:DWORD
	v_mul_f16_sdwa v51, v176, v90 dst_sel:DWORD dst_unused:UNUSED_PAD src0_sel:WORD_1 src1_sel:DWORD
	v_fma_f16 v81, v41, -0.5, v81
	v_add_f16_e32 v41, v5, v3
	v_sub_f16_e32 v3, v5, v3
	v_add_f16_e32 v5, v12, v48
	v_fma_f16 v12, v42, -0.5, v12
	v_sub_f16_e32 v42, v16, v20
	v_fma_f16 v49, v54, v18, v49
	v_mul_f16_sdwa v18, v54, v18 dst_sel:DWORD dst_unused:UNUSED_PAD src0_sel:WORD_1 src1_sel:DWORD
	v_fma_f16 v51, v176, v22, v51
	v_mul_f16_sdwa v22, v176, v22 dst_sel:DWORD dst_unused:UNUSED_PAD src0_sel:WORD_1 src1_sel:DWORD
	v_add_f16_e32 v85, v0, v84
	v_sub_f16_e32 v0, v0, v84
	v_add_f16_e32 v84, v36, v43
	v_sub_f16_e32 v36, v36, v43
	v_fma_f16 v43, v42, s3, v12
	v_fma_f16 v12, v42, s2, v12
	v_add_f16_e32 v42, v86, v16
	v_add_f16_e32 v16, v16, v20
	v_fma_f16 v18, v54, v88, -v18
	v_fma_f16 v22, v176, v90, -v22
	v_add_f16_e32 v9, v9, v46
	v_add_f16_e32 v42, v42, v20
	v_fma_f16 v16, v16, -0.5, v86
	v_sub_f16_e32 v20, v48, v50
	v_add_f16_e32 v48, v49, v51
	v_add_f16_e32 v7, v4, v9
	;; [unrolled: 1-line block ×3, first 2 shown]
	v_sub_f16_e32 v4, v4, v9
	v_sub_f16_e32 v9, v67, v44
	v_fma_f16 v44, v20, s2, v16
	v_fma_f16 v16, v20, s3, v16
	v_add_f16_e32 v20, v47, v49
	v_fma_f16 v47, v48, -0.5, v47
	v_sub_f16_e32 v48, v18, v22
	v_add_f16_e32 v5, v5, v50
	v_fma_f16 v50, v48, s3, v47
	v_fma_f16 v47, v48, s2, v47
	v_add_f16_e32 v48, v14, v18
	v_add_f16_e32 v18, v18, v22
	v_fma_f16 v14, v18, -0.5, v14
	v_sub_f16_e32 v18, v49, v51
	v_lshrrev_b32_e32 v95, 16, v21
	v_add_f16_e32 v48, v48, v22
	v_fma_f16 v22, v18, s2, v14
	v_lshrrev_b32_e32 v92, 16, v15
	v_mul_f16_sdwa v55, v59, v95 dst_sel:DWORD dst_unused:UNUSED_PAD src0_sel:WORD_1 src1_sel:DWORD
	v_fma_f16 v14, v18, s3, v14
	v_mul_f16_e32 v49, 0xbaee, v22
	v_mul_f16_sdwa v52, v56, v92 dst_sel:DWORD dst_unused:UNUSED_PAD src0_sel:WORD_1 src1_sel:DWORD
	v_fma_f16 v55, v59, v21, v55
	v_mul_f16_sdwa v21, v59, v21 dst_sel:DWORD dst_unused:UNUSED_PAD src0_sel:WORD_1 src1_sel:DWORD
	v_add_f16_e32 v20, v20, v51
	v_fma_f16 v49, v50, 0.5, v49
	v_mul_f16_e32 v67, 0xbaee, v14
	v_mul_f16_e32 v14, -0.5, v14
	v_lshrrev_b32_e32 v94, 16, v19
	v_lshrrev_b32_e32 v96, 16, v23
	v_fma_f16 v52, v56, v15, v52
	v_mul_f16_sdwa v15, v56, v15 dst_sel:DWORD dst_unused:UNUSED_PAD src0_sel:WORD_1 src1_sel:DWORD
	v_fma_f16 v21, v59, v95, -v21
	v_add_f16_e32 v18, v5, v20
	v_add_f16_e32 v51, v43, v49
	v_mul_f16_e32 v22, 0.5, v22
	v_fma_f16 v14, v47, s2, v14
	v_sub_f16_e32 v5, v5, v20
	v_sub_f16_e32 v20, v43, v49
	v_add_f16_e32 v43, v53, v55
	v_lshrrev_b32_e32 v91, 16, v13
	v_fma_f16 v15, v56, v92, -v15
	v_mul_f16_sdwa v54, v58, v94 dst_sel:DWORD dst_unused:UNUSED_PAD src0_sel:WORD_1 src1_sel:DWORD
	v_mul_f16_sdwa v56, v177, v96 dst_sel:DWORD dst_unused:UNUSED_PAD src0_sel:WORD_1 src1_sel:DWORD
	v_fma_f16 v67, v47, -0.5, v67
	v_fma_f16 v22, v50, s2, v22
	v_add_f16_e32 v47, v16, v14
	v_sub_f16_e32 v14, v16, v14
	v_add_f16_e32 v16, v13, v53
	v_fma_f16 v13, v43, -0.5, v13
	v_sub_f16_e32 v43, v17, v21
	v_fma_f16 v54, v58, v19, v54
	v_mul_f16_sdwa v19, v58, v19 dst_sel:DWORD dst_unused:UNUSED_PAD src0_sel:WORD_1 src1_sel:DWORD
	v_fma_f16 v56, v177, v23, v56
	v_mul_f16_sdwa v23, v177, v23 dst_sel:DWORD dst_unused:UNUSED_PAD src0_sel:WORD_1 src1_sel:DWORD
	v_add_f16_e32 v50, v44, v22
	v_sub_f16_e32 v22, v44, v22
	v_fma_f16 v44, v43, s3, v13
	v_fma_f16 v13, v43, s2, v13
	v_add_f16_e32 v43, v91, v17
	v_add_f16_e32 v17, v17, v21
	v_fma_f16 v19, v58, v94, -v19
	v_fma_f16 v23, v177, v96, -v23
	v_add_f16_e32 v43, v43, v21
	v_fma_f16 v17, v17, -0.5, v91
	v_sub_f16_e32 v21, v53, v55
	v_add_f16_e32 v49, v54, v56
	v_add_f16_e32 v86, v42, v48
	v_sub_f16_e32 v42, v42, v48
	v_fma_f16 v48, v21, s2, v17
	v_fma_f16 v17, v21, s3, v17
	v_add_f16_e32 v21, v52, v54
	v_fma_f16 v49, v49, -0.5, v52
	v_sub_f16_e32 v52, v19, v23
	v_fma_f16 v53, v52, s3, v49
	v_fma_f16 v49, v52, s2, v49
	v_add_f16_e32 v52, v15, v19
	v_add_f16_e32 v19, v19, v23
	v_fma_f16 v15, v19, -0.5, v15
	v_sub_f16_e32 v19, v54, v56
	v_lshrrev_b32_e32 v99, 16, v28
	v_add_f16_e32 v52, v52, v23
	v_fma_f16 v23, v19, s2, v15
	v_mul_f16_sdwa v58, v61, v99 dst_sel:DWORD dst_unused:UNUSED_PAD src0_sel:WORD_1 src1_sel:DWORD
	v_fma_f16 v15, v19, s3, v15
	v_mul_f16_e32 v54, 0xbaee, v23
	v_lshrrev_b32_e32 v100, 16, v30
	s_waitcnt lgkmcnt(0)
	v_lshrrev_b32_e32 v102, 16, v34
	v_fma_f16 v58, v61, v28, v58
	v_mul_f16_sdwa v28, v61, v28 dst_sel:DWORD dst_unused:UNUSED_PAD src0_sel:WORD_1 src1_sel:DWORD
	v_add_f16_e32 v16, v16, v55
	v_add_f16_e32 v21, v21, v56
	v_fma_f16 v54, v53, 0.5, v54
	v_mul_f16_e32 v56, 0xbaee, v15
	v_mul_f16_e32 v15, -0.5, v15
	v_fma_f16 v28, v61, v99, -v28
	v_mul_f16_sdwa v59, v62, v100 dst_sel:DWORD dst_unused:UNUSED_PAD src0_sel:WORD_1 src1_sel:DWORD
	v_mul_f16_sdwa v61, v178, v102 dst_sel:DWORD dst_unused:UNUSED_PAD src0_sel:WORD_1 src1_sel:DWORD
	v_add_f16_e32 v19, v16, v21
	v_add_f16_e32 v55, v44, v54
	v_mul_f16_e32 v23, 0.5, v23
	v_fma_f16 v15, v49, s2, v15
	v_sub_f16_e32 v16, v16, v21
	v_sub_f16_e32 v21, v44, v54
	v_add_f16_e32 v44, v58, v60
	v_lshrrev_b32_e32 v97, 16, v24
	v_fma_f16 v59, v62, v30, v59
	v_mul_f16_sdwa v30, v62, v30 dst_sel:DWORD dst_unused:UNUSED_PAD src0_sel:WORD_1 src1_sel:DWORD
	v_fma_f16 v61, v178, v34, v61
	v_mul_f16_sdwa v34, v178, v34 dst_sel:DWORD dst_unused:UNUSED_PAD src0_sel:WORD_1 src1_sel:DWORD
	v_fma_f16 v56, v49, -0.5, v56
	v_fma_f16 v23, v53, s2, v23
	v_add_f16_e32 v49, v17, v15
	v_sub_f16_e32 v15, v17, v15
	v_add_f16_e32 v17, v24, v58
	v_fma_f16 v24, v44, -0.5, v24
	v_sub_f16_e32 v44, v28, v32
	v_fma_f16 v30, v62, v100, -v30
	v_fma_f16 v34, v178, v102, -v34
	v_add_f16_e32 v53, v48, v23
	v_sub_f16_e32 v23, v48, v23
	v_fma_f16 v48, v44, s3, v24
	v_fma_f16 v24, v44, s2, v24
	v_add_f16_e32 v44, v97, v28
	v_add_f16_e32 v28, v28, v32
	;; [unrolled: 1-line block ×4, first 2 shown]
	v_sub_f16_e32 v38, v82, v38
	v_add_f16_e32 v82, v1, v81
	v_sub_f16_e32 v1, v1, v81
	v_add_f16_e32 v81, v12, v67
	;; [unrolled: 2-line block ×4, first 2 shown]
	v_fma_f16 v28, v28, -0.5, v97
	v_sub_f16_e32 v32, v58, v60
	v_fma_f16 v54, v54, -0.5, v57
	v_sub_f16_e32 v56, v30, v34
	v_lshrrev_b32_e32 v104, 16, v27
	v_add_f16_e32 v88, v43, v52
	v_sub_f16_e32 v43, v43, v52
	v_fma_f16 v52, v32, s2, v28
	v_fma_f16 v28, v32, s3, v28
	v_add_f16_e32 v32, v57, v59
	v_fma_f16 v57, v56, s3, v54
	v_fma_f16 v54, v56, s2, v54
	v_add_f16_e32 v56, v26, v30
	v_add_f16_e32 v30, v30, v34
	v_mul_f16_sdwa v62, v64, v104 dst_sel:DWORD dst_unused:UNUSED_PAD src0_sel:WORD_1 src1_sel:DWORD
	v_fma_f16 v26, v30, -0.5, v26
	v_sub_f16_e32 v30, v59, v61
	v_lshrrev_b32_e32 v106, 16, v31
	v_fma_f16 v62, v64, v27, v62
	v_mul_f16_sdwa v27, v64, v27 dst_sel:DWORD dst_unused:UNUSED_PAD src0_sel:WORD_1 src1_sel:DWORD
	v_add_f16_e32 v56, v56, v34
	v_fma_f16 v34, v30, s2, v26
	v_fma_f16 v27, v64, v104, -v27
	v_mul_f16_sdwa v64, v66, v106 dst_sel:DWORD dst_unused:UNUSED_PAD src0_sel:WORD_1 src1_sel:DWORD
	v_fma_f16 v26, v30, s3, v26
	v_mul_f16_e32 v58, 0xbaee, v34
	v_lshrrev_b32_e32 v108, 16, v35
	v_fma_f16 v64, v66, v31, v64
	v_mul_f16_sdwa v31, v66, v31 dst_sel:DWORD dst_unused:UNUSED_PAD src0_sel:WORD_1 src1_sel:DWORD
	v_add_f16_e32 v17, v17, v60
	v_add_f16_e32 v32, v32, v61
	v_fma_f16 v58, v57, 0.5, v58
	v_mul_f16_e32 v60, 0xbaee, v26
	v_mul_f16_e32 v26, -0.5, v26
	v_fma_f16 v31, v66, v106, -v31
	v_mul_f16_sdwa v66, v179, v108 dst_sel:DWORD dst_unused:UNUSED_PAD src0_sel:WORD_1 src1_sel:DWORD
	v_add_f16_e32 v30, v17, v32
	v_add_f16_e32 v59, v48, v58
	v_mul_f16_e32 v34, 0.5, v34
	v_fma_f16 v26, v54, s2, v26
	v_sub_f16_e32 v17, v17, v32
	v_sub_f16_e32 v32, v48, v58
	v_add_f16_e32 v48, v63, v65
	v_lshrrev_b32_e32 v103, 16, v25
	v_fma_f16 v66, v179, v35, v66
	v_mul_f16_sdwa v35, v179, v35 dst_sel:DWORD dst_unused:UNUSED_PAD src0_sel:WORD_1 src1_sel:DWORD
	v_fma_f16 v60, v54, -0.5, v60
	v_fma_f16 v34, v57, s2, v34
	v_add_f16_e32 v54, v28, v26
	v_sub_f16_e32 v26, v28, v26
	v_add_f16_e32 v28, v25, v63
	v_fma_f16 v25, v48, -0.5, v25
	v_sub_f16_e32 v48, v29, v33
	v_fma_f16 v35, v179, v108, -v35
	v_add_f16_e32 v57, v52, v34
	v_sub_f16_e32 v34, v52, v34
	v_fma_f16 v52, v48, s3, v25
	v_fma_f16 v25, v48, s2, v25
	v_add_f16_e32 v48, v103, v29
	v_add_f16_e32 v29, v29, v33
	;; [unrolled: 1-line block ×4, first 2 shown]
	v_sub_f16_e32 v24, v24, v60
	v_add_f16_e32 v48, v48, v33
	v_fma_f16 v29, v29, -0.5, v103
	v_sub_f16_e32 v33, v63, v65
	v_fma_f16 v58, v58, -0.5, v62
	v_sub_f16_e32 v60, v31, v35
	v_add_f16_e32 v89, v44, v56
	v_sub_f16_e32 v44, v44, v56
	v_fma_f16 v56, v33, s2, v29
	v_fma_f16 v29, v33, s3, v29
	v_add_f16_e32 v33, v62, v64
	v_fma_f16 v62, v60, s3, v58
	v_fma_f16 v58, v60, s2, v58
	v_add_f16_e32 v60, v27, v31
	v_add_f16_e32 v31, v31, v35
	v_fma_f16 v27, v31, -0.5, v27
	v_sub_f16_e32 v31, v64, v66
	v_add_f16_e32 v60, v60, v35
	v_fma_f16 v35, v31, s2, v27
	v_fma_f16 v27, v31, s3, v27
	v_add_f16_e32 v28, v28, v65
	v_mul_f16_e32 v65, 0xbaee, v27
	v_mul_f16_e32 v27, -0.5, v27
	v_fma_f16 v27, v58, s2, v27
	v_fma_f16 v65, v58, -0.5, v65
	v_add_f16_e32 v58, v29, v27
	v_sub_f16_e32 v27, v29, v27
	v_pack_b32_f16 v29, v40, v83
	v_pack_b32_f16 v8, v8, v39
	;; [unrolled: 1-line block ×4, first 2 shown]
	ds_write_b32 v111, v29 offset:1440
	v_pack_b32_f16 v29, v85, v37
	ds_write_b32 v111, v8 offset:4320
	v_pack_b32_f16 v8, v38, v10
	;; [unrolled: 2-line block ×3, first 2 shown]
	ds_write_b32 v111, v29 offset:2880
	ds_write_b32 v111, v8 offset:5760
	ds_write2_b32 v111, v6, v0 offset1:60
	v_pack_b32_f16 v0, v46, v45
	v_pack_b32_f16 v4, v4, v36
	;; [unrolled: 1-line block ×4, first 2 shown]
	ds_write_b32 v111, v4 offset:4560
	ds_write2_b32 v75, v0, v6 offset0:164 offset1:224
	v_pack_b32_f16 v0, v81, v47
	ds_write2_b32 v78, v2, v0 offset0:12 offset1:72
	v_pack_b32_f16 v0, v5, v42
	v_pack_b32_f16 v4, v9, v11
	ds_write_b32 v111, v0 offset:4800
	v_pack_b32_f16 v0, v20, v22
	v_add_u32_e32 v2, 0x1600, v111
	v_pack_b32_f16 v1, v1, v3
	ds_write2_b32 v2, v4, v0 offset0:92 offset1:152
	v_pack_b32_f16 v0, v12, v14
	v_pack_b32_f16 v3, v18, v86
	ds_write2_b32 v76, v1, v0 offset0:68 offset1:128
	v_pack_b32_f16 v0, v19, v88
	ds_write2_b32 v111, v3, v0 offset0:120 offset1:180
	v_pack_b32_f16 v0, v55, v53
	v_pack_b32_f16 v6, v59, v57
	v_pack_b32_f16 v1, v67, v49
	ds_write2_b32 v79, v0, v6 offset0:28 offset1:88
	v_pack_b32_f16 v0, v61, v54
	v_pack_b32_f16 v2, v16, v43
	ds_write2_b32 v78, v1, v0 offset0:132 offset1:192
	v_pack_b32_f16 v0, v17, v44
	v_add_u32_e32 v1, 0x1200, v111
	v_add_f16_e32 v33, v33, v66
	v_mul_f16_e32 v63, 0xbaee, v35
	v_mul_f16_e32 v35, 0.5, v35
	v_pack_b32_f16 v3, v21, v23
	ds_write2_b32 v1, v2, v0 offset0:108 offset1:168
	v_pack_b32_f16 v0, v32, v34
	v_add_f16_e32 v31, v28, v33
	v_fma_f16 v63, v62, 0.5, v63
	v_add_f16_e32 v90, v48, v60
	v_fma_f16 v35, v62, s2, v35
	v_pack_b32_f16 v4, v13, v15
	ds_write2_b32 v73, v3, v0 offset0:84 offset1:144
	v_pack_b32_f16 v0, v24, v26
	v_add_f16_e32 v64, v52, v63
	v_add_f16_e32 v62, v56, v35
	v_pack_b32_f16 v5, v30, v89
	ds_write2_b32 v76, v4, v0 offset0:188 offset1:248
	v_pack_b32_f16 v0, v31, v90
	v_add_f16_e32 v66, v25, v65
	ds_write2_b32 v80, v5, v0 offset0:112 offset1:172
	v_pack_b32_f16 v0, v64, v62
	v_sub_f16_e32 v28, v28, v33
	v_sub_f16_e32 v48, v48, v60
	ds_write_b32 v111, v0 offset:2640
	v_pack_b32_f16 v0, v66, v58
	v_sub_f16_e32 v33, v52, v63
	v_sub_f16_e32 v35, v56, v35
	ds_write_b32 v111, v0 offset:4080
	v_pack_b32_f16 v0, v28, v48
	v_sub_f16_e32 v25, v25, v65
	ds_write_b32 v111, v0 offset:5520
	v_pack_b32_f16 v0, v33, v35
	ds_write_b32 v111, v0 offset:6960
	v_pack_b32_f16 v0, v25, v27
	ds_write_b32 v111, v0 offset:8400
	s_waitcnt lgkmcnt(0)
	; wave barrier
	s_waitcnt lgkmcnt(0)
	ds_read2_b32 v[5:6], v111 offset1:60
	s_mov_b32 s12, 0xc901e574
	s_mov_b32 s13, 0x3f3e573a
	v_mad_u64_u32 v[2:3], s[2:3], s10, v70, 0
	s_waitcnt lgkmcnt(0)
	v_lshrrev_b32_e32 v7, 16, v5
	v_mul_f16_sdwa v0, v144, v7 dst_sel:DWORD dst_unused:UNUSED_PAD src0_sel:WORD_1 src1_sel:DWORD
	v_fma_f16 v0, v144, v5, v0
	v_cvt_f32_f16_e32 v0, v0
	s_movk_i32 s15, 0x1ff
	v_mad_u64_u32 v[3:4], s[2:3], s11, v70, v[3:4]
	v_cvt_f64_f32_e32 v[0:1], v0
	s_movk_i32 s10, 0xffe
	v_mul_f16_sdwa v5, v144, v5 dst_sel:DWORD dst_unused:UNUSED_PAD src0_sel:WORD_1 src1_sel:DWORD
	v_fma_f16 v5, v144, v7, -v5
	v_mul_f64 v[0:1], v[0:1], s[12:13]
	v_cvt_f32_f16_e32 v5, v5
	v_mov_b32_e32 v15, 0x7c00
	s_movk_i32 s11, 0x40f
	s_mov_b32 s14, 0x8000
	v_lshlrev_b64 v[2:3], 2, v[2:3]
	s_mul_i32 s17, s9, 0x6c0
	s_movk_i32 s16, 0x1000
	v_and_or_b32 v0, v1, s15, v0
	v_cmp_ne_u32_e32 vcc, 0, v0
	v_cndmask_b32_e64 v0, 0, 1, vcc
	v_lshrrev_b32_e32 v4, 8, v1
	v_bfe_u32 v8, v1, 20, 11
	v_and_or_b32 v0, v4, s10, v0
	v_sub_u32_e32 v9, 0x3f1, v8
	v_or_b32_e32 v4, 0x1000, v0
	v_med3_i32 v9, v9, 0, 13
	v_lshrrev_b32_e32 v10, v9, v4
	v_lshlrev_b32_e32 v9, v9, v10
	v_cmp_ne_u32_e32 vcc, v9, v4
	v_cndmask_b32_e64 v4, 0, 1, vcc
	v_add_u32_e32 v8, 0xfffffc10, v8
	v_or_b32_e32 v4, v10, v4
	v_lshl_or_b32 v9, v8, 12, v0
	v_cmp_gt_i32_e32 vcc, 1, v8
	v_cndmask_b32_e32 v4, v9, v4, vcc
	v_and_b32_e32 v9, 7, v4
	v_cmp_lt_i32_e32 vcc, 5, v9
	v_cmp_eq_u32_e64 s[2:3], 3, v9
	v_lshrrev_b32_e32 v4, 2, v4
	s_or_b64 vcc, s[2:3], vcc
	v_addc_co_u32_e32 v7, vcc, 0, v4, vcc
	v_cvt_f64_f32_e32 v[4:5], v5
	v_cmp_gt_i32_e32 vcc, 31, v8
	v_cndmask_b32_e32 v7, v15, v7, vcc
	v_cmp_ne_u32_e32 vcc, 0, v0
	v_mul_f64 v[4:5], v[4:5], s[12:13]
	v_cndmask_b32_e64 v0, 0, 1, vcc
	v_lshl_or_b32 v0, v0, 9, v15
	v_cmp_eq_u32_e32 vcc, s11, v8
	v_cndmask_b32_e32 v0, v7, v0, vcc
	v_lshrrev_b32_e32 v1, 16, v1
	v_and_or_b32 v9, v1, s14, v0
	v_and_b32_e32 v9, 0xffff, v9
	v_and_or_b32 v0, v5, s15, v4
	v_cmp_ne_u32_e32 vcc, 0, v0
	v_cndmask_b32_e64 v0, 0, 1, vcc
	v_lshrrev_b32_e32 v1, 8, v5
	v_bfe_u32 v4, v5, 20, 11
	v_and_or_b32 v0, v1, s10, v0
	v_sub_u32_e32 v7, 0x3f1, v4
	v_or_b32_e32 v1, 0x1000, v0
	v_med3_i32 v7, v7, 0, 13
	v_lshrrev_b32_e32 v8, v7, v1
	v_lshlrev_b32_e32 v7, v7, v8
	v_cmp_ne_u32_e32 vcc, v7, v1
	v_cndmask_b32_e64 v1, 0, 1, vcc
	v_add_u32_e32 v4, 0xfffffc10, v4
	v_or_b32_e32 v1, v8, v1
	v_lshl_or_b32 v7, v4, 12, v0
	v_cmp_gt_i32_e32 vcc, 1, v4
	v_cndmask_b32_e32 v1, v7, v1, vcc
	v_and_b32_e32 v7, 7, v1
	v_cmp_lt_i32_e32 vcc, 5, v7
	v_cmp_eq_u32_e64 s[2:3], 3, v7
	v_lshrrev_b32_e32 v1, 2, v1
	s_or_b64 vcc, s[2:3], vcc
	v_addc_co_u32_e32 v1, vcc, 0, v1, vcc
	v_cmp_gt_i32_e32 vcc, 31, v4
	v_cndmask_b32_e32 v1, v15, v1, vcc
	v_cmp_ne_u32_e32 vcc, 0, v0
	v_cndmask_b32_e64 v0, 0, 1, vcc
	v_lshl_or_b32 v0, v0, 9, v15
	v_cmp_eq_u32_e32 vcc, s11, v4
	v_mad_u64_u32 v[7:8], s[2:3], s8, v142, 0
	v_cndmask_b32_e32 v10, v1, v0, vcc
	ds_read2_b32 v[0:1], v111 offset0:120 offset1:216
	v_mov_b32_e32 v4, v8
	v_lshrrev_b32_e32 v11, 16, v5
	v_mad_u64_u32 v[4:5], s[2:3], s9, v142, v[4:5]
	s_waitcnt lgkmcnt(0)
	v_lshrrev_b32_e32 v12, 16, v1
	v_mul_f16_sdwa v5, v143, v12 dst_sel:DWORD dst_unused:UNUSED_PAD src0_sel:WORD_1 src1_sel:DWORD
	v_fma_f16 v5, v143, v1, v5
	v_cvt_f32_f16_e32 v5, v5
	v_mov_b32_e32 v8, v4
	v_and_or_b32 v10, v11, s14, v10
	v_lshl_or_b32 v9, v10, 16, v9
	v_cvt_f64_f32_e32 v[4:5], v5
	v_mov_b32_e32 v10, s7
	v_add_co_u32_e32 v17, vcc, s6, v2
	v_mul_f64 v[4:5], v[4:5], s[12:13]
	v_addc_co_u32_e32 v18, vcc, v10, v3, vcc
	v_lshlrev_b64 v[2:3], 2, v[7:8]
	v_mul_f16_sdwa v1, v143, v1 dst_sel:DWORD dst_unused:UNUSED_PAD src0_sel:WORD_1 src1_sel:DWORD
	v_add_co_u32_e32 v2, vcc, v17, v2
	v_addc_co_u32_e32 v3, vcc, v18, v3, vcc
	v_and_or_b32 v4, v5, s15, v4
	v_cmp_ne_u32_e32 vcc, 0, v4
	v_cndmask_b32_e64 v4, 0, 1, vcc
	v_lshrrev_b32_e32 v7, 8, v5
	v_bfe_u32 v8, v5, 20, 11
	global_store_dword v[2:3], v9, off
	v_and_or_b32 v4, v7, s10, v4
	v_sub_u32_e32 v9, 0x3f1, v8
	v_or_b32_e32 v7, 0x1000, v4
	v_med3_i32 v9, v9, 0, 13
	v_lshrrev_b32_e32 v10, v9, v7
	v_lshlrev_b32_e32 v9, v9, v10
	v_cmp_ne_u32_e32 vcc, v9, v7
	v_cndmask_b32_e64 v7, 0, 1, vcc
	v_fma_f16 v1, v143, v12, -v1
	v_or_b32_e32 v7, v10, v7
	v_add_u32_e32 v10, 0xfffffc10, v8
	v_cvt_f32_f16_e32 v1, v1
	v_lshl_or_b32 v8, v10, 12, v4
	v_cmp_gt_i32_e32 vcc, 1, v10
	v_cndmask_b32_e32 v7, v8, v7, vcc
	v_and_b32_e32 v8, 7, v7
	v_cmp_lt_i32_e32 vcc, 5, v8
	v_cmp_eq_u32_e64 s[2:3], 3, v8
	v_lshrrev_b32_e32 v9, 2, v7
	v_cvt_f64_f32_e32 v[7:8], v1
	s_or_b64 vcc, s[2:3], vcc
	v_addc_co_u32_e32 v1, vcc, 0, v9, vcc
	v_mul_f64 v[8:9], v[7:8], s[12:13]
	v_cmp_gt_i32_e32 vcc, 31, v10
	v_cndmask_b32_e32 v1, v15, v1, vcc
	v_cmp_ne_u32_e32 vcc, 0, v4
	v_cndmask_b32_e64 v4, 0, 1, vcc
	v_lshl_or_b32 v4, v4, 9, v15
	v_cmp_eq_u32_e32 vcc, s11, v10
	v_cndmask_b32_e32 v1, v1, v4, vcc
	v_lshrrev_b32_e32 v4, 16, v5
	v_and_or_b32 v1, v4, s14, v1
	v_and_or_b32 v4, v9, s15, v8
	v_cmp_ne_u32_e32 vcc, 0, v4
	v_cndmask_b32_e64 v4, 0, 1, vcc
	v_lshrrev_b32_e32 v5, 8, v9
	v_bfe_u32 v7, v9, 20, 11
	v_and_or_b32 v4, v5, s10, v4
	v_sub_u32_e32 v8, 0x3f1, v7
	v_or_b32_e32 v5, 0x1000, v4
	v_med3_i32 v8, v8, 0, 13
	v_lshrrev_b32_e32 v10, v8, v5
	v_lshlrev_b32_e32 v8, v8, v10
	v_cmp_ne_u32_e32 vcc, v8, v5
	v_cndmask_b32_e64 v5, 0, 1, vcc
	v_or_b32_e32 v5, v10, v5
	v_add_u32_e32 v10, 0xfffffc10, v7
	v_lshl_or_b32 v7, v10, 12, v4
	v_cmp_gt_i32_e32 vcc, 1, v10
	v_cndmask_b32_e32 v5, v7, v5, vcc
	v_and_b32_e32 v7, 7, v5
	v_cmp_lt_i32_e32 vcc, 5, v7
	v_cmp_eq_u32_e64 s[2:3], 3, v7
	v_lshrrev_b32_e32 v5, 2, v5
	s_or_b64 vcc, s[2:3], vcc
	v_addc_co_u32_e32 v5, vcc, 0, v5, vcc
	ds_read2_b32 v[7:8], v75 offset0:176 offset1:236
	v_cmp_gt_i32_e32 vcc, 31, v10
	v_cndmask_b32_e32 v5, v15, v5, vcc
	v_cmp_ne_u32_e32 vcc, 0, v4
	v_cndmask_b32_e64 v4, 0, 1, vcc
	v_lshl_or_b32 v4, v4, 9, v15
	v_cmp_eq_u32_e32 vcc, s11, v10
	v_cndmask_b32_e32 v4, v5, v4, vcc
	v_lshrrev_b32_e32 v5, 16, v9
	s_waitcnt lgkmcnt(0)
	v_lshrrev_b32_e32 v11, 16, v7
	v_and_or_b32 v9, v5, s14, v4
	v_mul_f16_sdwa v4, v140, v11 dst_sel:DWORD dst_unused:UNUSED_PAD src0_sel:WORD_1 src1_sel:DWORD
	v_fma_f16 v4, v140, v7, v4
	v_cvt_f32_f16_e32 v4, v4
	s_mul_i32 s2, s9, 0xd8
	s_mul_hi_u32 s3, s8, 0xd8
	s_add_i32 s3, s3, s2
	v_cvt_f64_f32_e32 v[4:5], v4
	s_mul_i32 s2, s8, 0xd8
	v_and_b32_e32 v1, 0xffff, v1
	s_lshl_b64 s[6:7], s[2:3], 2
	v_mul_f64 v[4:5], v[4:5], s[12:13]
	v_lshl_or_b32 v1, v9, 16, v1
	v_mov_b32_e32 v16, s7
	v_add_co_u32_e32 v9, vcc, s6, v2
	v_addc_co_u32_e32 v10, vcc, v3, v16, vcc
	global_store_dword v[9:10], v1, off
	v_and_or_b32 v1, v5, s15, v4
	v_cmp_ne_u32_e32 vcc, 0, v1
	v_cndmask_b32_e64 v1, 0, 1, vcc
	v_lshrrev_b32_e32 v2, 8, v5
	v_and_or_b32 v4, v2, s10, v1
	v_bfe_u32 v2, v5, 20, 11
	v_sub_u32_e32 v3, 0x3f1, v2
	v_or_b32_e32 v1, 0x1000, v4
	v_med3_i32 v3, v3, 0, 13
	v_lshrrev_b32_e32 v12, v3, v1
	v_lshlrev_b32_e32 v3, v3, v12
	v_cmp_ne_u32_e32 vcc, v3, v1
	v_mul_f16_sdwa v3, v140, v7 dst_sel:DWORD dst_unused:UNUSED_PAD src0_sel:WORD_1 src1_sel:DWORD
	v_cndmask_b32_e64 v1, 0, 1, vcc
	v_fma_f16 v3, v140, v11, -v3
	v_or_b32_e32 v1, v12, v1
	v_add_u32_e32 v12, 0xfffffc10, v2
	v_cvt_f32_f16_e32 v3, v3
	v_lshl_or_b32 v2, v12, 12, v4
	v_cmp_gt_i32_e32 vcc, 1, v12
	v_cndmask_b32_e32 v1, v2, v1, vcc
	v_and_b32_e32 v2, 7, v1
	v_cmp_lt_i32_e32 vcc, 5, v2
	v_cmp_eq_u32_e64 s[2:3], 3, v2
	v_lshrrev_b32_e32 v7, 2, v1
	v_cvt_f64_f32_e32 v[1:2], v3
	s_or_b64 vcc, s[2:3], vcc
	v_addc_co_u32_e32 v3, vcc, 0, v7, vcc
	v_cmp_gt_i32_e32 vcc, 31, v12
	v_cndmask_b32_e32 v7, v15, v3, vcc
	v_mul_f64 v[2:3], v[1:2], s[12:13]
	v_cmp_ne_u32_e32 vcc, 0, v4
	v_cndmask_b32_e64 v1, 0, 1, vcc
	v_lshl_or_b32 v1, v1, 9, v15
	v_cmp_eq_u32_e32 vcc, s11, v12
	v_cndmask_b32_e32 v1, v7, v1, vcc
	v_lshrrev_b32_e32 v4, 16, v5
	v_and_or_b32 v7, v4, s14, v1
	v_and_or_b32 v1, v3, s15, v2
	v_cmp_ne_u32_e32 vcc, 0, v1
	v_cndmask_b32_e64 v1, 0, 1, vcc
	v_lshrrev_b32_e32 v2, 8, v3
	v_and_or_b32 v4, v2, s10, v1
	v_bfe_u32 v2, v3, 20, 11
	v_sub_u32_e32 v5, 0x3f1, v2
	v_or_b32_e32 v1, 0x1000, v4
	v_med3_i32 v5, v5, 0, 13
	v_lshrrev_b32_e32 v11, v5, v1
	v_lshlrev_b32_e32 v5, v5, v11
	v_cmp_ne_u32_e32 vcc, v5, v1
	v_cndmask_b32_e64 v1, 0, 1, vcc
	v_or_b32_e32 v1, v11, v1
	v_add_u32_e32 v11, 0xfffffc10, v2
	v_lshl_or_b32 v2, v11, 12, v4
	v_cmp_gt_i32_e32 vcc, 1, v11
	v_cndmask_b32_e32 v1, v2, v1, vcc
	v_and_b32_e32 v2, 7, v1
	v_cmp_lt_i32_e32 vcc, 5, v2
	v_cmp_eq_u32_e64 s[2:3], 3, v2
	v_lshrrev_b32_e32 v5, 2, v1
	ds_read2_b32 v[1:2], v79 offset0:40 offset1:136
	s_or_b64 vcc, s[2:3], vcc
	v_addc_co_u32_e32 v5, vcc, 0, v5, vcc
	v_cmp_gt_i32_e32 vcc, 31, v11
	s_waitcnt lgkmcnt(0)
	v_lshrrev_b32_e32 v13, 16, v2
	v_cndmask_b32_e32 v12, v15, v5, vcc
	v_mul_f16_sdwa v5, v138, v13 dst_sel:DWORD dst_unused:UNUSED_PAD src0_sel:WORD_1 src1_sel:DWORD
	v_fma_f16 v5, v138, v2, v5
	v_cvt_f32_f16_e32 v5, v5
	v_cmp_ne_u32_e32 vcc, 0, v4
	v_cndmask_b32_e64 v4, 0, 1, vcc
	v_lshl_or_b32 v14, v4, 9, v15
	v_cvt_f64_f32_e32 v[4:5], v5
	v_cmp_eq_u32_e32 vcc, s11, v11
	v_cndmask_b32_e32 v11, v12, v14, vcc
	v_lshrrev_b32_e32 v3, 16, v3
	v_and_or_b32 v11, v3, s14, v11
	v_mul_f64 v[3:4], v[4:5], s[12:13]
	v_and_b32_e32 v5, 0xffff, v7
	v_lshl_or_b32 v5, v11, 16, v5
	v_add_co_u32_e32 v11, vcc, s6, v9
	v_addc_co_u32_e32 v12, vcc, v10, v16, vcc
	global_store_dword v[11:12], v5, off
	v_and_or_b32 v3, v4, s15, v3
	v_cmp_ne_u32_e32 vcc, 0, v3
	v_cndmask_b32_e64 v3, 0, 1, vcc
	v_lshrrev_b32_e32 v5, 8, v4
	v_bfe_u32 v7, v4, 20, 11
	v_and_or_b32 v5, v5, s10, v3
	v_sub_u32_e32 v9, 0x3f1, v7
	v_or_b32_e32 v3, 0x1000, v5
	v_med3_i32 v9, v9, 0, 13
	v_lshrrev_b32_e32 v10, v9, v3
	v_lshlrev_b32_e32 v9, v9, v10
	v_mul_f16_sdwa v2, v138, v2 dst_sel:DWORD dst_unused:UNUSED_PAD src0_sel:WORD_1 src1_sel:DWORD
	v_cmp_ne_u32_e32 vcc, v9, v3
	v_fma_f16 v2, v138, v13, -v2
	v_cndmask_b32_e64 v3, 0, 1, vcc
	v_add_u32_e32 v7, 0xfffffc10, v7
	v_cvt_f32_f16_e32 v2, v2
	v_or_b32_e32 v3, v10, v3
	v_lshl_or_b32 v9, v7, 12, v5
	v_cmp_gt_i32_e32 vcc, 1, v7
	v_cndmask_b32_e32 v3, v9, v3, vcc
	v_and_b32_e32 v9, 7, v3
	v_cmp_lt_i32_e32 vcc, 5, v9
	v_cmp_eq_u32_e64 s[2:3], 3, v9
	v_lshrrev_b32_e32 v9, 2, v3
	v_cvt_f64_f32_e32 v[2:3], v2
	s_or_b64 vcc, s[2:3], vcc
	v_addc_co_u32_e32 v9, vcc, 0, v9, vcc
	v_mul_f64 v[2:3], v[2:3], s[12:13]
	v_cmp_gt_i32_e32 vcc, 31, v7
	v_cndmask_b32_e32 v9, v15, v9, vcc
	v_cmp_ne_u32_e32 vcc, 0, v5
	v_cndmask_b32_e64 v5, 0, 1, vcc
	v_lshl_or_b32 v5, v5, 9, v15
	v_cmp_eq_u32_e32 vcc, s11, v7
	v_cndmask_b32_e32 v5, v9, v5, vcc
	v_and_or_b32 v2, v3, s15, v2
	v_lshrrev_b32_e32 v4, 16, v4
	v_cmp_ne_u32_e32 vcc, 0, v2
	v_and_or_b32 v7, v4, s14, v5
	v_cndmask_b32_e64 v2, 0, 1, vcc
	v_lshrrev_b32_e32 v4, 8, v3
	v_bfe_u32 v5, v3, 20, 11
	v_and_or_b32 v2, v4, s10, v2
	v_sub_u32_e32 v9, 0x3f1, v5
	v_or_b32_e32 v4, 0x1000, v2
	v_med3_i32 v9, v9, 0, 13
	v_lshrrev_b32_e32 v10, v9, v4
	v_lshlrev_b32_e32 v9, v9, v10
	v_cmp_ne_u32_e32 vcc, v9, v4
	v_cndmask_b32_e64 v4, 0, 1, vcc
	v_add_u32_e32 v13, 0xfffffc10, v5
	v_or_b32_e32 v4, v10, v4
	v_lshl_or_b32 v5, v13, 12, v2
	v_cmp_gt_i32_e32 vcc, 1, v13
	v_cndmask_b32_e32 v4, v5, v4, vcc
	ds_read2_b32 v[9:10], v78 offset0:96 offset1:156
	v_and_b32_e32 v5, 7, v4
	v_cmp_lt_i32_e32 vcc, 5, v5
	v_cmp_eq_u32_e64 s[2:3], 3, v5
	v_lshrrev_b32_e32 v4, 2, v4
	s_or_b64 vcc, s[2:3], vcc
	v_addc_co_u32_e32 v4, vcc, 0, v4, vcc
	v_cmp_gt_i32_e32 vcc, 31, v13
	s_waitcnt lgkmcnt(0)
	v_lshrrev_b32_e32 v19, 16, v9
	v_cndmask_b32_e32 v14, v15, v4, vcc
	v_mul_f16_sdwa v4, v141, v19 dst_sel:DWORD dst_unused:UNUSED_PAD src0_sel:WORD_1 src1_sel:DWORD
	v_fma_f16 v4, v141, v9, v4
	v_cvt_f32_f16_e32 v4, v4
	v_cmp_ne_u32_e32 vcc, 0, v2
	v_cndmask_b32_e64 v2, 0, 1, vcc
	v_lshl_or_b32 v2, v2, 9, v15
	v_cvt_f64_f32_e32 v[4:5], v4
	v_cmp_eq_u32_e32 vcc, s11, v13
	v_cndmask_b32_e32 v2, v14, v2, vcc
	v_lshrrev_b32_e32 v3, 16, v3
	v_and_or_b32 v13, v3, s14, v2
	v_mul_f64 v[2:3], v[4:5], s[12:13]
	v_and_b32_e32 v4, 0xffff, v7
	v_lshl_or_b32 v7, v13, 16, v4
	v_add_co_u32_e32 v4, vcc, s6, v11
	v_addc_co_u32_e32 v5, vcc, v12, v16, vcc
	global_store_dword v[4:5], v7, off
	v_and_or_b32 v2, v3, s15, v2
	v_cmp_ne_u32_e32 vcc, 0, v2
	v_cndmask_b32_e64 v2, 0, 1, vcc
	v_lshrrev_b32_e32 v7, 8, v3
	v_bfe_u32 v11, v3, 20, 11
	v_and_or_b32 v2, v7, s10, v2
	v_sub_u32_e32 v12, 0x3f1, v11
	v_or_b32_e32 v7, 0x1000, v2
	v_med3_i32 v12, v12, 0, 13
	v_lshrrev_b32_e32 v13, v12, v7
	v_lshlrev_b32_e32 v12, v12, v13
	v_cmp_ne_u32_e32 vcc, v12, v7
	v_mul_f16_sdwa v9, v141, v9 dst_sel:DWORD dst_unused:UNUSED_PAD src0_sel:WORD_1 src1_sel:DWORD
	v_cndmask_b32_e64 v7, 0, 1, vcc
	v_fma_f16 v9, v141, v19, -v9
	v_or_b32_e32 v7, v13, v7
	v_add_u32_e32 v13, 0xfffffc10, v11
	v_cvt_f32_f16_e32 v9, v9
	v_lshl_or_b32 v11, v13, 12, v2
	v_cmp_gt_i32_e32 vcc, 1, v13
	v_cndmask_b32_e32 v7, v11, v7, vcc
	v_and_b32_e32 v11, 7, v7
	v_cmp_lt_i32_e32 vcc, 5, v11
	v_cmp_eq_u32_e64 s[2:3], 3, v11
	v_cvt_f64_f32_e32 v[11:12], v9
	v_lshrrev_b32_e32 v7, 2, v7
	s_or_b64 vcc, s[2:3], vcc
	v_addc_co_u32_e32 v7, vcc, 0, v7, vcc
	v_mul_f64 v[11:12], v[11:12], s[12:13]
	v_cmp_gt_i32_e32 vcc, 31, v13
	v_cndmask_b32_e32 v7, v15, v7, vcc
	v_cmp_ne_u32_e32 vcc, 0, v2
	v_cndmask_b32_e64 v2, 0, 1, vcc
	v_lshl_or_b32 v2, v2, 9, v15
	v_cmp_eq_u32_e32 vcc, s11, v13
	v_cndmask_b32_e32 v2, v7, v2, vcc
	v_lshrrev_b32_e32 v3, 16, v3
	v_and_or_b32 v7, v3, s14, v2
	v_and_or_b32 v2, v12, s15, v11
	v_cmp_ne_u32_e32 vcc, 0, v2
	v_cndmask_b32_e64 v2, 0, 1, vcc
	v_lshrrev_b32_e32 v3, 8, v12
	v_and_or_b32 v9, v3, s10, v2
	v_bfe_u32 v3, v12, 20, 11
	v_sub_u32_e32 v11, 0x3f1, v3
	v_or_b32_e32 v2, 0x1000, v9
	v_med3_i32 v11, v11, 0, 13
	v_lshrrev_b32_e32 v13, v11, v2
	v_lshlrev_b32_e32 v11, v11, v13
	v_cmp_ne_u32_e32 vcc, v11, v2
	v_cndmask_b32_e64 v2, 0, 1, vcc
	v_add_u32_e32 v11, 0xfffffc10, v3
	v_or_b32_e32 v2, v13, v2
	v_lshl_or_b32 v3, v11, 12, v9
	v_cmp_gt_i32_e32 vcc, 1, v11
	v_cndmask_b32_e32 v2, v3, v2, vcc
	v_and_b32_e32 v3, 7, v2
	v_lshrrev_b32_e32 v13, 2, v2
	v_add_u32_e32 v2, 0xe00, v111
	v_cmp_lt_i32_e32 vcc, 5, v3
	v_cmp_eq_u32_e64 s[2:3], 3, v3
	ds_read2_b32 v[2:3], v2 offset0:88 offset1:184
	s_or_b64 vcc, s[2:3], vcc
	v_addc_co_u32_e32 v13, vcc, 0, v13, vcc
	v_cmp_gt_i32_e32 vcc, 31, v11
	s_waitcnt lgkmcnt(0)
	v_lshrrev_b32_e32 v20, 16, v3
	v_cndmask_b32_e32 v19, v15, v13, vcc
	v_mul_f16_sdwa v13, v139, v20 dst_sel:DWORD dst_unused:UNUSED_PAD src0_sel:WORD_1 src1_sel:DWORD
	v_fma_f16 v13, v139, v3, v13
	v_cvt_f32_f16_e32 v13, v13
	v_cmp_ne_u32_e32 vcc, 0, v9
	v_cndmask_b32_e64 v9, 0, 1, vcc
	v_lshl_or_b32 v9, v9, 9, v15
	v_cvt_f64_f32_e32 v[13:14], v13
	v_cmp_eq_u32_e32 vcc, s11, v11
	v_cndmask_b32_e32 v9, v19, v9, vcc
	v_lshrrev_b32_e32 v11, 16, v12
	v_and_or_b32 v9, v11, s14, v9
	v_mul_f64 v[11:12], v[13:14], s[12:13]
	v_and_b32_e32 v7, 0xffff, v7
	v_add_co_u32_e32 v4, vcc, s6, v4
	v_lshl_or_b32 v7, v9, 16, v7
	v_addc_co_u32_e32 v5, vcc, v5, v16, vcc
	global_store_dword v[4:5], v7, off
	v_and_or_b32 v7, v12, s15, v11
	v_cmp_ne_u32_e32 vcc, 0, v7
	v_cndmask_b32_e64 v7, 0, 1, vcc
	v_lshrrev_b32_e32 v9, 8, v12
	v_bfe_u32 v11, v12, 20, 11
	v_and_or_b32 v7, v9, s10, v7
	v_sub_u32_e32 v13, 0x3f1, v11
	v_or_b32_e32 v9, 0x1000, v7
	v_med3_i32 v13, v13, 0, 13
	v_lshrrev_b32_e32 v14, v13, v9
	v_lshlrev_b32_e32 v13, v13, v14
	v_mul_f16_sdwa v3, v139, v3 dst_sel:DWORD dst_unused:UNUSED_PAD src0_sel:WORD_1 src1_sel:DWORD
	v_cmp_ne_u32_e32 vcc, v13, v9
	v_fma_f16 v3, v139, v20, -v3
	v_cndmask_b32_e64 v9, 0, 1, vcc
	v_add_u32_e32 v11, 0xfffffc10, v11
	v_cvt_f32_f16_e32 v3, v3
	v_or_b32_e32 v9, v14, v9
	v_lshl_or_b32 v13, v11, 12, v7
	v_cmp_gt_i32_e32 vcc, 1, v11
	v_cndmask_b32_e32 v9, v13, v9, vcc
	v_and_b32_e32 v13, 7, v9
	v_cmp_lt_i32_e32 vcc, 5, v13
	v_cmp_eq_u32_e64 s[2:3], 3, v13
	v_cvt_f64_f32_e32 v[13:14], v3
	v_lshrrev_b32_e32 v9, 2, v9
	s_or_b64 vcc, s[2:3], vcc
	v_addc_co_u32_e32 v3, vcc, 0, v9, vcc
	v_mul_f64 v[13:14], v[13:14], s[12:13]
	v_cmp_gt_i32_e32 vcc, 31, v11
	v_cndmask_b32_e32 v3, v15, v3, vcc
	v_cmp_ne_u32_e32 vcc, 0, v7
	v_cndmask_b32_e64 v7, 0, 1, vcc
	v_lshl_or_b32 v7, v7, 9, v15
	v_cmp_eq_u32_e32 vcc, s11, v11
	v_cndmask_b32_e32 v3, v3, v7, vcc
	v_lshrrev_b32_e32 v7, 16, v12
	v_and_or_b32 v3, v7, s14, v3
	v_and_or_b32 v7, v14, s15, v13
	v_cmp_ne_u32_e32 vcc, 0, v7
	v_cndmask_b32_e64 v7, 0, 1, vcc
	v_lshrrev_b32_e32 v9, 8, v14
	v_bfe_u32 v11, v14, 20, 11
	v_and_or_b32 v7, v9, s10, v7
	v_sub_u32_e32 v12, 0x3f1, v11
	v_or_b32_e32 v9, 0x1000, v7
	v_med3_i32 v12, v12, 0, 13
	v_lshrrev_b32_e32 v13, v12, v9
	v_lshlrev_b32_e32 v12, v12, v13
	v_cmp_ne_u32_e32 vcc, v12, v9
	v_cndmask_b32_e64 v9, 0, 1, vcc
	v_or_b32_e32 v9, v13, v9
	v_add_u32_e32 v13, 0xfffffc10, v11
	v_lshl_or_b32 v11, v13, 12, v7
	v_cmp_gt_i32_e32 vcc, 1, v13
	v_cndmask_b32_e32 v9, v11, v9, vcc
	v_and_b32_e32 v11, 7, v9
	v_cmp_lt_i32_e32 vcc, 5, v11
	v_cmp_eq_u32_e64 s[2:3], 3, v11
	ds_read2_b32 v[11:12], v77 offset0:16 offset1:76
	v_lshrrev_b32_e32 v9, 2, v9
	s_or_b64 vcc, s[2:3], vcc
	v_addc_co_u32_e32 v9, vcc, 0, v9, vcc
	s_waitcnt lgkmcnt(0)
	v_lshrrev_b32_e32 v21, 16, v11
	v_mul_f16_sdwa v19, v137, v21 dst_sel:DWORD dst_unused:UNUSED_PAD src0_sel:WORD_1 src1_sel:DWORD
	v_fma_f16 v19, v137, v11, v19
	v_cvt_f32_f16_e32 v19, v19
	v_cmp_gt_i32_e32 vcc, 31, v13
	v_cndmask_b32_e32 v9, v15, v9, vcc
	v_cmp_ne_u32_e32 vcc, 0, v7
	v_cvt_f64_f32_e32 v[19:20], v19
	v_cndmask_b32_e64 v7, 0, 1, vcc
	v_lshl_or_b32 v7, v7, 9, v15
	v_cmp_eq_u32_e32 vcc, s11, v13
	v_cndmask_b32_e32 v7, v9, v7, vcc
	v_lshrrev_b32_e32 v9, 16, v14
	v_mul_f64 v[13:14], v[19:20], s[12:13]
	v_and_or_b32 v7, v9, s14, v7
	v_and_b32_e32 v3, 0xffff, v3
	v_add_co_u32_e32 v19, vcc, s6, v4
	v_lshl_or_b32 v3, v7, 16, v3
	v_addc_co_u32_e32 v20, vcc, v5, v16, vcc
	global_store_dword v[19:20], v3, off
	v_and_or_b32 v3, v14, s15, v13
	v_cmp_ne_u32_e32 vcc, 0, v3
	v_cndmask_b32_e64 v3, 0, 1, vcc
	v_lshrrev_b32_e32 v4, 8, v14
	v_and_or_b32 v7, v4, s10, v3
	v_bfe_u32 v4, v14, 20, 11
	v_sub_u32_e32 v5, 0x3f1, v4
	v_or_b32_e32 v3, 0x1000, v7
	v_med3_i32 v5, v5, 0, 13
	v_lshrrev_b32_e32 v9, v5, v3
	v_lshlrev_b32_e32 v5, v5, v9
	v_cmp_ne_u32_e32 vcc, v5, v3
	v_mul_f16_sdwa v5, v137, v11 dst_sel:DWORD dst_unused:UNUSED_PAD src0_sel:WORD_1 src1_sel:DWORD
	v_cndmask_b32_e64 v3, 0, 1, vcc
	v_fma_f16 v5, v137, v21, -v5
	v_or_b32_e32 v3, v9, v3
	v_add_u32_e32 v9, 0xfffffc10, v4
	v_cvt_f32_f16_e32 v5, v5
	v_lshl_or_b32 v4, v9, 12, v7
	v_cmp_gt_i32_e32 vcc, 1, v9
	v_cndmask_b32_e32 v3, v4, v3, vcc
	v_and_b32_e32 v4, 7, v3
	v_cmp_lt_i32_e32 vcc, 5, v4
	v_cmp_eq_u32_e64 s[2:3], 3, v4
	v_lshrrev_b32_e32 v11, 2, v3
	v_cvt_f64_f32_e32 v[3:4], v5
	s_or_b64 vcc, s[2:3], vcc
	v_addc_co_u32_e32 v5, vcc, 0, v11, vcc
	v_cmp_gt_i32_e32 vcc, 31, v9
	v_cndmask_b32_e32 v11, v15, v5, vcc
	v_mul_f64 v[4:5], v[3:4], s[12:13]
	v_cmp_ne_u32_e32 vcc, 0, v7
	v_cndmask_b32_e64 v3, 0, 1, vcc
	v_lshl_or_b32 v3, v3, 9, v15
	v_cmp_eq_u32_e32 vcc, s11, v9
	v_cndmask_b32_e32 v3, v11, v3, vcc
	v_lshrrev_b32_e32 v7, 16, v14
	v_and_or_b32 v7, v7, s14, v3
	v_and_or_b32 v3, v5, s15, v4
	v_cmp_ne_u32_e32 vcc, 0, v3
	v_cndmask_b32_e64 v3, 0, 1, vcc
	v_lshrrev_b32_e32 v4, 8, v5
	v_and_or_b32 v9, v4, s10, v3
	v_bfe_u32 v4, v5, 20, 11
	v_sub_u32_e32 v11, 0x3f1, v4
	v_or_b32_e32 v3, 0x1000, v9
	v_med3_i32 v11, v11, 0, 13
	v_lshrrev_b32_e32 v13, v11, v3
	v_lshlrev_b32_e32 v11, v11, v13
	v_cmp_ne_u32_e32 vcc, v11, v3
	v_cndmask_b32_e64 v3, 0, 1, vcc
	v_add_u32_e32 v11, 0xfffffc10, v4
	v_or_b32_e32 v3, v13, v3
	v_lshl_or_b32 v4, v11, 12, v9
	v_cmp_gt_i32_e32 vcc, 1, v11
	v_cndmask_b32_e32 v3, v4, v3, vcc
	v_and_b32_e32 v4, 7, v3
	v_cmp_lt_i32_e32 vcc, 5, v4
	v_cmp_eq_u32_e64 s[2:3], 3, v4
	v_lshrrev_b32_e32 v13, 2, v3
	ds_read2_b32 v[3:4], v77 offset0:136 offset1:232
	s_or_b64 vcc, s[2:3], vcc
	v_addc_co_u32_e32 v13, vcc, 0, v13, vcc
	v_cmp_gt_i32_e32 vcc, 31, v11
	s_waitcnt lgkmcnt(0)
	v_lshrrev_b32_e32 v22, 16, v4
	v_cndmask_b32_e32 v21, v15, v13, vcc
	v_mul_f16_sdwa v13, v136, v22 dst_sel:DWORD dst_unused:UNUSED_PAD src0_sel:WORD_1 src1_sel:DWORD
	v_fma_f16 v13, v136, v4, v13
	v_cvt_f32_f16_e32 v13, v13
	v_cmp_ne_u32_e32 vcc, 0, v9
	v_cndmask_b32_e64 v9, 0, 1, vcc
	v_lshl_or_b32 v9, v9, 9, v15
	v_cvt_f64_f32_e32 v[13:14], v13
	v_cmp_eq_u32_e32 vcc, s11, v11
	v_cndmask_b32_e32 v9, v21, v9, vcc
	v_lshrrev_b32_e32 v5, 16, v5
	v_mul_f64 v[13:14], v[13:14], s[12:13]
	v_and_or_b32 v5, v5, s14, v9
	v_and_b32_e32 v7, 0xffff, v7
	v_add_co_u32_e32 v19, vcc, s6, v19
	v_lshl_or_b32 v5, v5, 16, v7
	v_addc_co_u32_e32 v20, vcc, v20, v16, vcc
	global_store_dword v[19:20], v5, off
	v_and_or_b32 v5, v14, s15, v13
	v_cmp_ne_u32_e32 vcc, 0, v5
	v_cndmask_b32_e64 v5, 0, 1, vcc
	v_lshrrev_b32_e32 v7, 8, v14
	v_bfe_u32 v9, v14, 20, 11
	v_and_or_b32 v7, v7, s10, v5
	v_sub_u32_e32 v11, 0x3f1, v9
	v_or_b32_e32 v5, 0x1000, v7
	v_med3_i32 v11, v11, 0, 13
	v_lshrrev_b32_e32 v13, v11, v5
	v_lshlrev_b32_e32 v11, v11, v13
	v_mul_f16_sdwa v4, v136, v4 dst_sel:DWORD dst_unused:UNUSED_PAD src0_sel:WORD_1 src1_sel:DWORD
	v_cmp_ne_u32_e32 vcc, v11, v5
	v_fma_f16 v4, v136, v22, -v4
	v_cndmask_b32_e64 v5, 0, 1, vcc
	v_add_u32_e32 v9, 0xfffffc10, v9
	v_cvt_f32_f16_e32 v4, v4
	v_or_b32_e32 v5, v13, v5
	v_lshl_or_b32 v11, v9, 12, v7
	v_cmp_gt_i32_e32 vcc, 1, v9
	v_cndmask_b32_e32 v5, v11, v5, vcc
	v_and_b32_e32 v11, 7, v5
	v_cmp_lt_i32_e32 vcc, 5, v11
	v_cmp_eq_u32_e64 s[2:3], 3, v11
	v_lshrrev_b32_e32 v11, 2, v5
	v_cvt_f64_f32_e32 v[4:5], v4
	s_or_b64 vcc, s[2:3], vcc
	v_addc_co_u32_e32 v11, vcc, 0, v11, vcc
	v_mul_f64 v[4:5], v[4:5], s[12:13]
	v_cmp_gt_i32_e32 vcc, 31, v9
	v_cndmask_b32_e32 v11, v15, v11, vcc
	v_cmp_ne_u32_e32 vcc, 0, v7
	v_cndmask_b32_e64 v7, 0, 1, vcc
	v_lshl_or_b32 v7, v7, 9, v15
	v_cmp_eq_u32_e32 vcc, s11, v9
	v_cndmask_b32_e32 v7, v11, v7, vcc
	v_and_or_b32 v4, v5, s15, v4
	v_lshrrev_b32_e32 v9, 16, v14
	v_cmp_ne_u32_e32 vcc, 0, v4
	v_and_or_b32 v7, v9, s14, v7
	v_cndmask_b32_e64 v4, 0, 1, vcc
	v_lshrrev_b32_e32 v9, 8, v5
	v_bfe_u32 v11, v5, 20, 11
	v_and_or_b32 v4, v9, s10, v4
	v_sub_u32_e32 v13, 0x3f1, v11
	v_or_b32_e32 v9, 0x1000, v4
	v_med3_i32 v13, v13, 0, 13
	v_lshrrev_b32_e32 v14, v13, v9
	v_lshlrev_b32_e32 v13, v13, v14
	v_cmp_ne_u32_e32 vcc, v13, v9
	v_cndmask_b32_e64 v9, 0, 1, vcc
	v_add_u32_e32 v11, 0xfffffc10, v11
	v_or_b32_e32 v9, v14, v9
	v_lshl_or_b32 v13, v11, 12, v4
	v_cmp_gt_i32_e32 vcc, 1, v11
	v_cndmask_b32_e32 v9, v13, v9, vcc
	v_and_b32_e32 v13, 7, v9
	v_cmp_lt_i32_e32 vcc, 5, v13
	v_cmp_eq_u32_e64 s[2:3], 3, v13
	ds_read2_b32 v[13:14], v73 offset0:192 offset1:252
	v_lshrrev_b32_e32 v9, 2, v9
	s_or_b64 vcc, s[2:3], vcc
	v_addc_co_u32_e32 v9, vcc, 0, v9, vcc
	s_waitcnt lgkmcnt(0)
	v_lshrrev_b32_e32 v23, 16, v13
	v_mul_f16_sdwa v21, v135, v23 dst_sel:DWORD dst_unused:UNUSED_PAD src0_sel:WORD_1 src1_sel:DWORD
	v_fma_f16 v21, v135, v13, v21
	v_cvt_f32_f16_e32 v21, v21
	v_cmp_gt_i32_e32 vcc, 31, v11
	v_cndmask_b32_e32 v9, v15, v9, vcc
	v_cmp_ne_u32_e32 vcc, 0, v4
	v_cvt_f64_f32_e32 v[21:22], v21
	v_cndmask_b32_e64 v4, 0, 1, vcc
	v_lshl_or_b32 v4, v4, 9, v15
	v_cmp_eq_u32_e32 vcc, s11, v11
	v_cndmask_b32_e32 v4, v9, v4, vcc
	v_lshrrev_b32_e32 v5, 16, v5
	v_and_or_b32 v9, v5, s14, v4
	v_mul_f64 v[4:5], v[21:22], s[12:13]
	v_add_co_u32_e32 v21, vcc, s6, v19
	v_and_b32_e32 v7, 0xffff, v7
	v_addc_co_u32_e32 v22, vcc, v20, v16, vcc
	v_lshl_or_b32 v7, v9, 16, v7
	global_store_dword v[21:22], v7, off
	v_and_or_b32 v4, v5, s15, v4
	v_cmp_ne_u32_e32 vcc, 0, v4
	v_cndmask_b32_e64 v4, 0, 1, vcc
	v_lshrrev_b32_e32 v7, 8, v5
	v_bfe_u32 v9, v5, 20, 11
	v_and_or_b32 v4, v7, s10, v4
	v_sub_u32_e32 v11, 0x3f1, v9
	v_mul_f16_sdwa v13, v135, v13 dst_sel:DWORD dst_unused:UNUSED_PAD src0_sel:WORD_1 src1_sel:DWORD
	v_or_b32_e32 v7, 0x1000, v4
	v_med3_i32 v11, v11, 0, 13
	v_fma_f16 v13, v135, v23, -v13
	v_lshrrev_b32_e32 v19, v11, v7
	v_cvt_f32_f16_e32 v13, v13
	v_lshlrev_b32_e32 v11, v11, v19
	v_cmp_ne_u32_e32 vcc, v11, v7
	v_cndmask_b32_e64 v7, 0, 1, vcc
	v_or_b32_e32 v7, v19, v7
	v_add_u32_e32 v9, 0xfffffc10, v9
	v_cvt_f64_f32_e32 v[19:20], v13
	v_lshl_or_b32 v11, v9, 12, v4
	v_cmp_gt_i32_e32 vcc, 1, v9
	v_cndmask_b32_e32 v7, v11, v7, vcc
	v_and_b32_e32 v11, 7, v7
	v_cmp_lt_i32_e32 vcc, 5, v11
	v_cmp_eq_u32_e64 s[2:3], 3, v11
	v_mul_f64 v[19:20], v[19:20], s[12:13]
	v_lshrrev_b32_e32 v7, 2, v7
	s_or_b64 vcc, s[2:3], vcc
	v_addc_co_u32_e32 v7, vcc, 0, v7, vcc
	v_cmp_gt_i32_e32 vcc, 31, v9
	v_cndmask_b32_e32 v7, v15, v7, vcc
	v_cmp_ne_u32_e32 vcc, 0, v4
	v_cndmask_b32_e64 v4, 0, 1, vcc
	v_lshl_or_b32 v4, v4, 9, v15
	v_cmp_eq_u32_e32 vcc, s11, v9
	v_cndmask_b32_e32 v4, v7, v4, vcc
	v_lshrrev_b32_e32 v5, 16, v5
	v_and_or_b32 v9, v5, s14, v4
	v_and_or_b32 v4, v20, s15, v19
	v_cmp_ne_u32_e32 vcc, 0, v4
	v_cndmask_b32_e64 v4, 0, 1, vcc
	v_lshrrev_b32_e32 v5, 8, v20
	v_bfe_u32 v7, v20, 20, 11
	v_and_or_b32 v4, v5, s10, v4
	v_sub_u32_e32 v11, 0x3f1, v7
	v_or_b32_e32 v5, 0x1000, v4
	v_med3_i32 v11, v11, 0, 13
	v_lshrrev_b32_e32 v13, v11, v5
	v_lshlrev_b32_e32 v11, v11, v13
	v_cmp_ne_u32_e32 vcc, v11, v5
	v_cndmask_b32_e64 v5, 0, 1, vcc
	v_add_u32_e32 v7, 0xfffffc10, v7
	v_or_b32_e32 v5, v13, v5
	v_lshl_or_b32 v11, v7, 12, v4
	v_cmp_gt_i32_e32 vcc, 1, v7
	v_cndmask_b32_e32 v5, v11, v5, vcc
	v_and_b32_e32 v11, 7, v5
	v_cmp_lt_i32_e32 vcc, 5, v11
	v_cmp_eq_u32_e64 s[2:3], 3, v11
	v_lshrrev_b32_e32 v5, 2, v5
	s_or_b64 vcc, s[2:3], vcc
	v_addc_co_u32_e32 v5, vcc, 0, v5, vcc
	v_cmp_gt_i32_e32 vcc, 31, v7
	v_cndmask_b32_e32 v11, v15, v5, vcc
	v_cmp_ne_u32_e32 vcc, 0, v4
	ds_read2_b32 v[4:5], v76 offset0:56 offset1:152
	v_cndmask_b32_e64 v13, 0, 1, vcc
	v_lshl_or_b32 v13, v13, 9, v15
	v_cmp_eq_u32_e32 vcc, s11, v7
	v_cndmask_b32_e32 v11, v11, v13, vcc
	s_waitcnt lgkmcnt(0)
	v_lshrrev_b32_e32 v13, 16, v5
	v_mul_f16_sdwa v19, v133, v13 dst_sel:DWORD dst_unused:UNUSED_PAD src0_sel:WORD_1 src1_sel:DWORD
	v_mad_u64_u32 v[23:24], s[2:3], s8, v134, 0
	v_fma_f16 v19, v133, v5, v19
	v_cvt_f32_f16_e32 v19, v19
	v_mov_b32_e32 v7, v24
	v_mad_u64_u32 v[24:25], s[2:3], s9, v134, v[7:8]
	v_lshrrev_b32_e32 v7, 16, v20
	v_cvt_f64_f32_e32 v[19:20], v19
	v_lshlrev_b64 v[23:24], 2, v[23:24]
	v_and_or_b32 v7, v7, s14, v11
	v_and_b32_e32 v9, 0xffff, v9
	v_mul_f64 v[19:20], v[19:20], s[12:13]
	v_add_co_u32_e32 v23, vcc, v17, v23
	v_lshl_or_b32 v7, v7, 16, v9
	v_addc_co_u32_e32 v24, vcc, v18, v24, vcc
	global_store_dword v[23:24], v7, off
	v_mul_f16_sdwa v5, v133, v5 dst_sel:DWORD dst_unused:UNUSED_PAD src0_sel:WORD_1 src1_sel:DWORD
	v_and_or_b32 v7, v20, s15, v19
	v_cmp_ne_u32_e32 vcc, 0, v7
	v_cndmask_b32_e64 v7, 0, 1, vcc
	v_lshrrev_b32_e32 v9, 8, v20
	v_bfe_u32 v11, v20, 20, 11
	v_and_or_b32 v7, v9, s10, v7
	v_sub_u32_e32 v19, 0x3f1, v11
	v_or_b32_e32 v9, 0x1000, v7
	v_med3_i32 v19, v19, 0, 13
	v_fma_f16 v5, v133, v13, -v5
	v_lshrrev_b32_e32 v23, v19, v9
	v_cvt_f32_f16_e32 v5, v5
	v_lshlrev_b32_e32 v19, v19, v23
	v_cmp_ne_u32_e32 vcc, v19, v9
	v_cndmask_b32_e64 v9, 0, 1, vcc
	v_or_b32_e32 v9, v23, v9
	v_add_u32_e32 v11, 0xfffffc10, v11
	v_cvt_f64_f32_e32 v[23:24], v5
	v_lshl_or_b32 v19, v11, 12, v7
	v_cmp_gt_i32_e32 vcc, 1, v11
	v_cndmask_b32_e32 v9, v19, v9, vcc
	v_and_b32_e32 v19, 7, v9
	v_cmp_lt_i32_e32 vcc, 5, v19
	v_cmp_eq_u32_e64 s[2:3], 3, v19
	v_mul_f64 v[23:24], v[23:24], s[12:13]
	v_lshrrev_b32_e32 v9, 2, v9
	s_or_b64 vcc, s[2:3], vcc
	v_addc_co_u32_e32 v5, vcc, 0, v9, vcc
	v_cmp_gt_i32_e32 vcc, 31, v11
	v_cndmask_b32_e32 v5, v15, v5, vcc
	v_cmp_ne_u32_e32 vcc, 0, v7
	v_cndmask_b32_e64 v7, 0, 1, vcc
	v_lshl_or_b32 v7, v7, 9, v15
	v_cmp_eq_u32_e32 vcc, s11, v11
	v_cndmask_b32_e32 v5, v5, v7, vcc
	v_lshrrev_b32_e32 v7, 16, v20
	v_and_or_b32 v5, v7, s14, v5
	v_and_or_b32 v7, v24, s15, v23
	v_cmp_ne_u32_e32 vcc, 0, v7
	v_cndmask_b32_e64 v7, 0, 1, vcc
	v_lshrrev_b32_e32 v9, 8, v24
	v_bfe_u32 v11, v24, 20, 11
	v_and_or_b32 v7, v9, s10, v7
	v_sub_u32_e32 v13, 0x3f1, v11
	v_or_b32_e32 v9, 0x1000, v7
	v_med3_i32 v13, v13, 0, 13
	v_lshrrev_b32_e32 v19, v13, v9
	v_lshlrev_b32_e32 v13, v13, v19
	v_cmp_ne_u32_e32 vcc, v13, v9
	v_cndmask_b32_e64 v9, 0, 1, vcc
	v_add_u32_e32 v11, 0xfffffc10, v11
	v_or_b32_e32 v9, v19, v9
	v_lshl_or_b32 v13, v11, 12, v7
	v_cmp_gt_i32_e32 vcc, 1, v11
	v_cndmask_b32_e32 v9, v13, v9, vcc
	v_and_b32_e32 v13, 7, v9
	v_cmp_lt_i32_e32 vcc, 5, v13
	v_cmp_eq_u32_e64 s[2:3], 3, v13
	v_lshrrev_b32_e32 v13, 16, v6
	v_mul_f16_sdwa v19, v132, v13 dst_sel:DWORD dst_unused:UNUSED_PAD src0_sel:WORD_1 src1_sel:DWORD
	v_fma_f16 v19, v132, v6, v19
	v_cvt_f32_f16_e32 v19, v19
	v_lshrrev_b32_e32 v9, 2, v9
	s_or_b64 vcc, s[2:3], vcc
	v_addc_co_u32_e32 v9, vcc, 0, v9, vcc
	v_cmp_gt_i32_e32 vcc, 31, v11
	v_cvt_f64_f32_e32 v[25:26], v19
	v_cndmask_b32_e32 v9, v15, v9, vcc
	v_cmp_ne_u32_e32 vcc, 0, v7
	v_cndmask_b32_e64 v7, 0, 1, vcc
	v_lshl_or_b32 v7, v7, 9, v15
	v_cmp_eq_u32_e32 vcc, s11, v11
	v_cndmask_b32_e32 v7, v9, v7, vcc
	v_lshrrev_b32_e32 v9, 16, v24
	v_mul_f64 v[23:24], v[25:26], s[12:13]
	v_mov_b32_e32 v19, 0x6c0
	v_mad_u64_u32 v[21:22], s[2:3], s8, v19, v[21:22]
	v_and_or_b32 v7, v9, s14, v7
	v_and_b32_e32 v5, 0xffff, v5
	v_lshl_or_b32 v5, v7, 16, v5
	v_add_u32_e32 v22, s17, v22
	global_store_dword v[21:22], v5, off
	v_and_or_b32 v5, v24, s15, v23
	v_cmp_ne_u32_e32 vcc, 0, v5
	v_cndmask_b32_e64 v5, 0, 1, vcc
	v_lshrrev_b32_e32 v7, 8, v24
	v_and_or_b32 v9, v7, s10, v5
	v_bfe_u32 v7, v24, 20, 11
	v_sub_u32_e32 v11, 0x3f1, v7
	v_or_b32_e32 v5, 0x1000, v9
	v_med3_i32 v11, v11, 0, 13
	v_lshrrev_b32_e32 v20, v11, v5
	v_lshlrev_b32_e32 v11, v11, v20
	v_mul_f16_sdwa v6, v132, v6 dst_sel:DWORD dst_unused:UNUSED_PAD src0_sel:WORD_1 src1_sel:DWORD
	v_cmp_ne_u32_e32 vcc, v11, v5
	v_fma_f16 v6, v132, v13, -v6
	v_cndmask_b32_e64 v5, 0, 1, vcc
	v_add_u32_e32 v11, 0xfffffc10, v7
	v_cvt_f32_f16_e32 v6, v6
	v_or_b32_e32 v5, v20, v5
	v_lshl_or_b32 v7, v11, 12, v9
	v_cmp_gt_i32_e32 vcc, 1, v11
	v_cndmask_b32_e32 v5, v7, v5, vcc
	v_and_b32_e32 v7, 7, v5
	v_cmp_lt_i32_e32 vcc, 5, v7
	v_cmp_eq_u32_e64 s[2:3], 3, v7
	v_lshrrev_b32_e32 v7, 2, v5
	v_cvt_f64_f32_e32 v[5:6], v6
	s_or_b64 vcc, s[2:3], vcc
	v_addc_co_u32_e32 v7, vcc, 0, v7, vcc
	v_cmp_gt_i32_e32 vcc, 31, v11
	v_cndmask_b32_e32 v13, v15, v7, vcc
	v_mul_f64 v[6:7], v[5:6], s[12:13]
	v_cmp_ne_u32_e32 vcc, 0, v9
	v_cndmask_b32_e64 v5, 0, 1, vcc
	v_lshl_or_b32 v5, v5, 9, v15
	v_cmp_eq_u32_e32 vcc, s11, v11
	v_cndmask_b32_e32 v5, v13, v5, vcc
	v_lshrrev_b32_e32 v9, 16, v24
	v_and_or_b32 v9, v9, s14, v5
	v_and_or_b32 v5, v7, s15, v6
	v_cmp_ne_u32_e32 vcc, 0, v5
	v_cndmask_b32_e64 v5, 0, 1, vcc
	v_lshrrev_b32_e32 v6, 8, v7
	v_bfe_u32 v11, v7, 20, 11
	v_and_or_b32 v5, v6, s10, v5
	v_sub_u32_e32 v13, 0x3f1, v11
	v_or_b32_e32 v6, 0x1000, v5
	v_med3_i32 v13, v13, 0, 13
	v_lshrrev_b32_e32 v20, v13, v6
	v_lshlrev_b32_e32 v13, v13, v20
	v_cmp_ne_u32_e32 vcc, v13, v6
	v_cndmask_b32_e64 v6, 0, 1, vcc
	v_add_u32_e32 v11, 0xfffffc10, v11
	v_or_b32_e32 v6, v20, v6
	v_lshl_or_b32 v13, v11, 12, v5
	v_cmp_gt_i32_e32 vcc, 1, v11
	v_cndmask_b32_e32 v6, v13, v6, vcc
	v_and_b32_e32 v13, 7, v6
	v_cmp_lt_i32_e32 vcc, 5, v13
	v_cmp_eq_u32_e64 s[2:3], 3, v13
	v_lshrrev_b32_e32 v6, 2, v6
	s_or_b64 vcc, s[2:3], vcc
	v_addc_co_u32_e32 v6, vcc, 0, v6, vcc
	v_cmp_gt_i32_e32 vcc, 31, v11
	v_cndmask_b32_e32 v13, v15, v6, vcc
	v_cmp_ne_u32_e32 vcc, 0, v5
	v_cndmask_b32_e64 v5, 0, 1, vcc
	v_lshl_or_b32 v20, v5, 9, v15
	ds_read2_b32 v[5:6], v75 offset0:20 offset1:80
	v_cmp_eq_u32_e32 vcc, s11, v11
	v_cndmask_b32_e32 v11, v13, v20, vcc
	v_lshrrev_b32_e32 v7, 16, v7
	v_and_or_b32 v7, v7, s14, v11
	s_waitcnt lgkmcnt(0)
	v_lshrrev_b32_e32 v11, 16, v5
	v_mul_f16_sdwa v13, v131, v11 dst_sel:DWORD dst_unused:UNUSED_PAD src0_sel:WORD_1 src1_sel:DWORD
	v_fma_f16 v13, v131, v5, v13
	v_cvt_f32_f16_e32 v13, v13
	s_mul_hi_u32 s3, s8, 0xfffff8a4
	s_mul_i32 s2, s9, 0xfffff8a4
	s_sub_i32 s3, s3, s8
	v_cvt_f64_f32_e32 v[23:24], v13
	s_add_i32 s3, s3, s2
	s_mul_i32 s2, s8, 0xfffff8a4
	s_lshl_b64 s[4:5], s[2:3], 2
	v_mul_f64 v[23:24], v[23:24], s[12:13]
	v_and_b32_e32 v9, 0xffff, v9
	v_mov_b32_e32 v20, s5
	v_add_co_u32_e32 v21, vcc, s4, v21
	v_lshl_or_b32 v7, v7, 16, v9
	v_addc_co_u32_e32 v22, vcc, v22, v20, vcc
	global_store_dword v[21:22], v7, off
	v_and_or_b32 v7, v24, s15, v23
	v_cmp_ne_u32_e32 vcc, 0, v7
	v_cndmask_b32_e64 v7, 0, 1, vcc
	v_lshrrev_b32_e32 v9, 8, v24
	v_bfe_u32 v13, v24, 20, 11
	v_and_or_b32 v7, v9, s10, v7
	v_sub_u32_e32 v23, 0x3f1, v13
	v_mul_f16_sdwa v5, v131, v5 dst_sel:DWORD dst_unused:UNUSED_PAD src0_sel:WORD_1 src1_sel:DWORD
	v_or_b32_e32 v9, 0x1000, v7
	v_med3_i32 v23, v23, 0, 13
	v_fma_f16 v5, v131, v11, -v5
	v_lshrrev_b32_e32 v25, v23, v9
	v_cvt_f32_f16_e32 v5, v5
	v_lshlrev_b32_e32 v23, v23, v25
	v_cmp_ne_u32_e32 vcc, v23, v9
	v_cndmask_b32_e64 v9, 0, 1, vcc
	v_or_b32_e32 v9, v25, v9
	v_add_u32_e32 v13, 0xfffffc10, v13
	v_cvt_f64_f32_e32 v[25:26], v5
	v_lshl_or_b32 v23, v13, 12, v7
	v_cmp_gt_i32_e32 vcc, 1, v13
	v_cndmask_b32_e32 v9, v23, v9, vcc
	v_and_b32_e32 v23, 7, v9
	v_cmp_lt_i32_e32 vcc, 5, v23
	v_cmp_eq_u32_e64 s[2:3], 3, v23
	v_mul_f64 v[25:26], v[25:26], s[12:13]
	v_lshrrev_b32_e32 v9, 2, v9
	s_or_b64 vcc, s[2:3], vcc
	v_addc_co_u32_e32 v5, vcc, 0, v9, vcc
	v_cmp_gt_i32_e32 vcc, 31, v13
	v_cndmask_b32_e32 v5, v15, v5, vcc
	v_cmp_ne_u32_e32 vcc, 0, v7
	v_cndmask_b32_e64 v7, 0, 1, vcc
	v_lshl_or_b32 v7, v7, 9, v15
	v_cmp_eq_u32_e32 vcc, s11, v13
	v_cndmask_b32_e32 v5, v5, v7, vcc
	v_lshrrev_b32_e32 v7, 16, v24
	v_and_or_b32 v5, v7, s14, v5
	v_and_or_b32 v7, v26, s15, v25
	v_cmp_ne_u32_e32 vcc, 0, v7
	v_cndmask_b32_e64 v7, 0, 1, vcc
	v_lshrrev_b32_e32 v9, 8, v26
	v_bfe_u32 v11, v26, 20, 11
	v_and_or_b32 v7, v9, s10, v7
	v_sub_u32_e32 v13, 0x3f1, v11
	v_or_b32_e32 v9, 0x1000, v7
	v_med3_i32 v13, v13, 0, 13
	v_lshrrev_b32_e32 v23, v13, v9
	v_lshlrev_b32_e32 v13, v13, v23
	v_cmp_ne_u32_e32 vcc, v13, v9
	v_cndmask_b32_e64 v9, 0, 1, vcc
	v_add_u32_e32 v11, 0xfffffc10, v11
	v_or_b32_e32 v9, v23, v9
	v_lshl_or_b32 v13, v11, 12, v7
	v_cmp_gt_i32_e32 vcc, 1, v11
	v_cndmask_b32_e32 v9, v13, v9, vcc
	v_and_b32_e32 v13, 7, v9
	v_cmp_lt_i32_e32 vcc, 5, v13
	v_cmp_eq_u32_e64 s[2:3], 3, v13
	v_lshrrev_b32_e32 v13, 16, v8
	v_mul_f16_sdwa v23, v130, v13 dst_sel:DWORD dst_unused:UNUSED_PAD src0_sel:WORD_1 src1_sel:DWORD
	v_fma_f16 v23, v130, v8, v23
	v_cvt_f32_f16_e32 v23, v23
	v_lshrrev_b32_e32 v9, 2, v9
	s_or_b64 vcc, s[2:3], vcc
	v_addc_co_u32_e32 v9, vcc, 0, v9, vcc
	v_cvt_f64_f32_e32 v[23:24], v23
	v_cmp_gt_i32_e32 vcc, 31, v11
	v_cndmask_b32_e32 v9, v15, v9, vcc
	v_cmp_ne_u32_e32 vcc, 0, v7
	v_mul_f64 v[23:24], v[23:24], s[12:13]
	v_cndmask_b32_e64 v7, 0, 1, vcc
	v_lshl_or_b32 v7, v7, 9, v15
	v_cmp_eq_u32_e32 vcc, s11, v11
	v_cndmask_b32_e32 v7, v9, v7, vcc
	v_lshrrev_b32_e32 v9, 16, v26
	v_and_or_b32 v7, v9, s14, v7
	v_and_b32_e32 v5, 0xffff, v5
	v_add_co_u32_e32 v21, vcc, s6, v21
	v_lshl_or_b32 v5, v7, 16, v5
	v_addc_co_u32_e32 v22, vcc, v22, v16, vcc
	global_store_dword v[21:22], v5, off
	v_and_or_b32 v5, v24, s15, v23
	v_cmp_ne_u32_e32 vcc, 0, v5
	v_cndmask_b32_e64 v5, 0, 1, vcc
	v_lshrrev_b32_e32 v7, 8, v24
	v_bfe_u32 v9, v24, 20, 11
	v_and_or_b32 v5, v7, s10, v5
	v_sub_u32_e32 v11, 0x3f1, v9
	v_or_b32_e32 v7, 0x1000, v5
	v_med3_i32 v11, v11, 0, 13
	v_lshrrev_b32_e32 v23, v11, v7
	v_lshlrev_b32_e32 v11, v11, v23
	v_mul_f16_sdwa v8, v130, v8 dst_sel:DWORD dst_unused:UNUSED_PAD src0_sel:WORD_1 src1_sel:DWORD
	v_cmp_ne_u32_e32 vcc, v11, v7
	v_fma_f16 v8, v130, v13, -v8
	v_cndmask_b32_e64 v7, 0, 1, vcc
	v_add_u32_e32 v9, 0xfffffc10, v9
	v_cvt_f32_f16_e32 v8, v8
	v_or_b32_e32 v7, v23, v7
	v_lshl_or_b32 v11, v9, 12, v5
	v_cmp_gt_i32_e32 vcc, 1, v9
	v_cndmask_b32_e32 v7, v11, v7, vcc
	v_and_b32_e32 v11, 7, v7
	v_cmp_lt_i32_e32 vcc, 5, v11
	v_cmp_eq_u32_e64 s[2:3], 3, v11
	v_lshrrev_b32_e32 v11, 2, v7
	v_cvt_f64_f32_e32 v[7:8], v8
	s_or_b64 vcc, s[2:3], vcc
	v_addc_co_u32_e32 v11, vcc, 0, v11, vcc
	v_mul_f64 v[25:26], v[7:8], s[12:13]
	v_cmp_gt_i32_e32 vcc, 31, v9
	v_cndmask_b32_e32 v11, v15, v11, vcc
	v_cmp_ne_u32_e32 vcc, 0, v5
	v_cndmask_b32_e64 v5, 0, 1, vcc
	v_lshl_or_b32 v5, v5, 9, v15
	v_cmp_eq_u32_e32 vcc, s11, v9
	v_cndmask_b32_e32 v5, v11, v5, vcc
	v_lshrrev_b32_e32 v7, 16, v24
	v_and_or_b32 v5, v7, s14, v5
	v_and_or_b32 v7, v26, s15, v25
	v_cmp_ne_u32_e32 vcc, 0, v7
	v_cndmask_b32_e64 v7, 0, 1, vcc
	v_lshrrev_b32_e32 v8, 8, v26
	v_bfe_u32 v9, v26, 20, 11
	v_and_or_b32 v7, v8, s10, v7
	v_sub_u32_e32 v11, 0x3f1, v9
	v_or_b32_e32 v8, 0x1000, v7
	v_med3_i32 v11, v11, 0, 13
	v_lshrrev_b32_e32 v13, v11, v8
	v_lshlrev_b32_e32 v11, v11, v13
	v_cmp_ne_u32_e32 vcc, v11, v8
	v_cndmask_b32_e64 v8, 0, 1, vcc
	v_add_u32_e32 v11, 0xfffffc10, v9
	v_or_b32_e32 v8, v13, v8
	v_lshl_or_b32 v9, v11, 12, v7
	v_cmp_gt_i32_e32 vcc, 1, v11
	v_cndmask_b32_e32 v8, v9, v8, vcc
	v_and_b32_e32 v9, 7, v8
	v_cmp_lt_i32_e32 vcc, 5, v9
	v_cmp_eq_u32_e64 s[2:3], 3, v9
	v_lshrrev_b32_e32 v13, 2, v8
	ds_read2_b32 v[8:9], v74 offset0:68 offset1:128
	s_or_b64 vcc, s[2:3], vcc
	v_addc_co_u32_e32 v13, vcc, 0, v13, vcc
	v_cmp_gt_i32_e32 vcc, 31, v11
	s_waitcnt lgkmcnt(0)
	v_lshrrev_b32_e32 v25, 16, v8
	v_mul_f16_sdwa v23, v128, v25 dst_sel:DWORD dst_unused:UNUSED_PAD src0_sel:WORD_1 src1_sel:DWORD
	v_fma_f16 v23, v128, v8, v23
	v_cvt_f32_f16_e32 v23, v23
	v_cndmask_b32_e32 v13, v15, v13, vcc
	v_cmp_ne_u32_e32 vcc, 0, v7
	v_cndmask_b32_e64 v7, 0, 1, vcc
	v_cvt_f64_f32_e32 v[23:24], v23
	v_lshl_or_b32 v7, v7, 9, v15
	v_cmp_eq_u32_e32 vcc, s11, v11
	v_cndmask_b32_e32 v7, v13, v7, vcc
	v_mul_f64 v[23:24], v[23:24], s[12:13]
	v_lshrrev_b32_e32 v11, 16, v26
	v_and_or_b32 v7, v11, s14, v7
	v_and_b32_e32 v5, 0xffff, v5
	v_add_co_u32_e32 v21, vcc, s6, v21
	v_lshl_or_b32 v5, v7, 16, v5
	v_addc_co_u32_e32 v22, vcc, v22, v16, vcc
	global_store_dword v[21:22], v5, off
	v_and_or_b32 v5, v24, s15, v23
	v_cmp_ne_u32_e32 vcc, 0, v5
	v_cndmask_b32_e64 v5, 0, 1, vcc
	v_lshrrev_b32_e32 v7, 8, v24
	v_bfe_u32 v11, v24, 20, 11
	v_and_or_b32 v5, v7, s10, v5
	v_sub_u32_e32 v13, 0x3f1, v11
	v_or_b32_e32 v7, 0x1000, v5
	v_med3_i32 v13, v13, 0, 13
	v_lshrrev_b32_e32 v23, v13, v7
	v_lshlrev_b32_e32 v13, v13, v23
	v_mul_f16_sdwa v8, v128, v8 dst_sel:DWORD dst_unused:UNUSED_PAD src0_sel:WORD_1 src1_sel:DWORD
	v_cmp_ne_u32_e32 vcc, v13, v7
	v_fma_f16 v8, v128, v25, -v8
	v_cndmask_b32_e64 v7, 0, 1, vcc
	v_add_u32_e32 v11, 0xfffffc10, v11
	v_cvt_f32_f16_e32 v8, v8
	v_or_b32_e32 v7, v23, v7
	v_lshl_or_b32 v13, v11, 12, v5
	v_cmp_gt_i32_e32 vcc, 1, v11
	v_cndmask_b32_e32 v7, v13, v7, vcc
	v_and_b32_e32 v13, 7, v7
	v_cmp_lt_i32_e32 vcc, 5, v13
	v_cmp_eq_u32_e64 s[2:3], 3, v13
	v_lshrrev_b32_e32 v13, 2, v7
	v_cvt_f64_f32_e32 v[7:8], v8
	s_or_b64 vcc, s[2:3], vcc
	v_addc_co_u32_e32 v13, vcc, 0, v13, vcc
	v_mul_f64 v[7:8], v[7:8], s[12:13]
	v_cmp_gt_i32_e32 vcc, 31, v11
	v_cndmask_b32_e32 v13, v15, v13, vcc
	v_cmp_ne_u32_e32 vcc, 0, v5
	v_cndmask_b32_e64 v5, 0, 1, vcc
	v_lshl_or_b32 v5, v5, 9, v15
	v_cmp_eq_u32_e32 vcc, s11, v11
	v_cndmask_b32_e32 v5, v13, v5, vcc
	v_and_or_b32 v7, v8, s15, v7
	v_lshrrev_b32_e32 v11, 16, v24
	v_cmp_ne_u32_e32 vcc, 0, v7
	v_and_or_b32 v5, v11, s14, v5
	v_cndmask_b32_e64 v7, 0, 1, vcc
	v_lshrrev_b32_e32 v11, 8, v8
	v_bfe_u32 v13, v8, 20, 11
	v_and_or_b32 v7, v11, s10, v7
	v_sub_u32_e32 v23, 0x3f1, v13
	v_or_b32_e32 v11, 0x1000, v7
	v_med3_i32 v23, v23, 0, 13
	v_lshrrev_b32_e32 v24, v23, v11
	v_lshlrev_b32_e32 v23, v23, v24
	v_cmp_ne_u32_e32 vcc, v23, v11
	v_cndmask_b32_e64 v11, 0, 1, vcc
	v_add_u32_e32 v13, 0xfffffc10, v13
	v_or_b32_e32 v11, v24, v11
	v_lshl_or_b32 v23, v13, 12, v7
	v_cmp_gt_i32_e32 vcc, 1, v13
	v_cndmask_b32_e32 v11, v23, v11, vcc
	v_and_b32_e32 v23, 7, v11
	v_lshrrev_b32_e32 v25, 16, v10
	v_cmp_lt_i32_e32 vcc, 5, v23
	v_cmp_eq_u32_e64 s[2:3], 3, v23
	v_mul_f16_sdwa v23, v127, v25 dst_sel:DWORD dst_unused:UNUSED_PAD src0_sel:WORD_1 src1_sel:DWORD
	v_fma_f16 v23, v127, v10, v23
	v_cvt_f32_f16_e32 v23, v23
	v_lshrrev_b32_e32 v11, 2, v11
	s_or_b64 vcc, s[2:3], vcc
	v_addc_co_u32_e32 v11, vcc, 0, v11, vcc
	v_cmp_gt_i32_e32 vcc, 31, v13
	v_cndmask_b32_e32 v11, v15, v11, vcc
	v_cmp_ne_u32_e32 vcc, 0, v7
	v_cvt_f64_f32_e32 v[23:24], v23
	v_cndmask_b32_e64 v7, 0, 1, vcc
	v_lshl_or_b32 v7, v7, 9, v15
	v_cmp_eq_u32_e32 vcc, s11, v13
	v_cndmask_b32_e32 v7, v11, v7, vcc
	v_lshrrev_b32_e32 v8, 16, v8
	v_and_or_b32 v11, v8, s14, v7
	v_mul_f64 v[7:8], v[23:24], s[12:13]
	v_and_b32_e32 v5, 0xffff, v5
	v_add_co_u32_e32 v21, vcc, s6, v21
	v_lshl_or_b32 v5, v11, 16, v5
	v_addc_co_u32_e32 v22, vcc, v22, v16, vcc
	global_store_dword v[21:22], v5, off
	v_and_or_b32 v5, v8, s15, v7
	v_cmp_ne_u32_e32 vcc, 0, v5
	v_cndmask_b32_e64 v5, 0, 1, vcc
	v_lshrrev_b32_e32 v7, 8, v8
	v_bfe_u32 v11, v8, 20, 11
	v_and_or_b32 v5, v7, s10, v5
	v_sub_u32_e32 v13, 0x3f1, v11
	v_or_b32_e32 v7, 0x1000, v5
	v_med3_i32 v13, v13, 0, 13
	v_lshrrev_b32_e32 v23, v13, v7
	v_lshlrev_b32_e32 v13, v13, v23
	v_mul_f16_sdwa v10, v127, v10 dst_sel:DWORD dst_unused:UNUSED_PAD src0_sel:WORD_1 src1_sel:DWORD
	v_cmp_ne_u32_e32 vcc, v13, v7
	v_fma_f16 v10, v127, v25, -v10
	v_cndmask_b32_e64 v7, 0, 1, vcc
	v_add_u32_e32 v13, 0xfffffc10, v11
	v_cvt_f32_f16_e32 v10, v10
	v_or_b32_e32 v7, v23, v7
	v_lshl_or_b32 v11, v13, 12, v5
	v_cmp_gt_i32_e32 vcc, 1, v13
	v_cndmask_b32_e32 v7, v11, v7, vcc
	v_and_b32_e32 v11, 7, v7
	v_cmp_lt_i32_e32 vcc, 5, v11
	v_cmp_eq_u32_e64 s[2:3], 3, v11
	v_cvt_f64_f32_e32 v[10:11], v10
	v_lshrrev_b32_e32 v7, 2, v7
	s_or_b64 vcc, s[2:3], vcc
	v_addc_co_u32_e32 v7, vcc, 0, v7, vcc
	v_mul_f64 v[10:11], v[10:11], s[12:13]
	v_cmp_gt_i32_e32 vcc, 31, v13
	v_cndmask_b32_e32 v7, v15, v7, vcc
	v_cmp_ne_u32_e32 vcc, 0, v5
	v_cndmask_b32_e64 v5, 0, 1, vcc
	v_lshl_or_b32 v5, v5, 9, v15
	v_cmp_eq_u32_e32 vcc, s11, v13
	v_cndmask_b32_e32 v5, v7, v5, vcc
	v_lshrrev_b32_e32 v7, 16, v8
	v_and_or_b32 v5, v7, s14, v5
	v_and_or_b32 v7, v11, s15, v10
	v_cmp_ne_u32_e32 vcc, 0, v7
	v_cndmask_b32_e64 v7, 0, 1, vcc
	v_lshrrev_b32_e32 v8, 8, v11
	v_and_or_b32 v10, v8, s10, v7
	v_bfe_u32 v8, v11, 20, 11
	v_sub_u32_e32 v13, 0x3f1, v8
	v_or_b32_e32 v7, 0x1000, v10
	v_med3_i32 v13, v13, 0, 13
	v_lshrrev_b32_e32 v23, v13, v7
	v_lshlrev_b32_e32 v13, v13, v23
	v_cmp_ne_u32_e32 vcc, v13, v7
	v_cndmask_b32_e64 v7, 0, 1, vcc
	v_add_u32_e32 v13, 0xfffffc10, v8
	v_or_b32_e32 v7, v23, v7
	v_lshl_or_b32 v8, v13, 12, v10
	v_cmp_gt_i32_e32 vcc, 1, v13
	v_cndmask_b32_e32 v7, v8, v7, vcc
	v_and_b32_e32 v8, 7, v7
	v_cmp_lt_i32_e32 vcc, 5, v8
	v_cmp_eq_u32_e64 s[2:3], 3, v8
	v_lshrrev_b32_e32 v23, 2, v7
	ds_read2_b32 v[7:8], v71 offset0:116 offset1:176
	s_or_b64 vcc, s[2:3], vcc
	v_addc_co_u32_e32 v23, vcc, 0, v23, vcc
	v_cmp_gt_i32_e32 vcc, 31, v13
	s_waitcnt lgkmcnt(0)
	v_lshrrev_b32_e32 v26, 16, v7
	v_cndmask_b32_e32 v25, v15, v23, vcc
	v_mul_f16_sdwa v23, v129, v26 dst_sel:DWORD dst_unused:UNUSED_PAD src0_sel:WORD_1 src1_sel:DWORD
	v_fma_f16 v23, v129, v7, v23
	v_cvt_f32_f16_e32 v23, v23
	v_cmp_ne_u32_e32 vcc, 0, v10
	v_cndmask_b32_e64 v10, 0, 1, vcc
	v_lshl_or_b32 v10, v10, 9, v15
	v_cvt_f64_f32_e32 v[23:24], v23
	v_cmp_eq_u32_e32 vcc, s11, v13
	v_cndmask_b32_e32 v10, v25, v10, vcc
	v_lshrrev_b32_e32 v11, 16, v11
	v_and_or_b32 v13, v11, s14, v10
	v_mul_f64 v[10:11], v[23:24], s[12:13]
	v_and_b32_e32 v5, 0xffff, v5
	v_add_co_u32_e32 v21, vcc, s6, v21
	v_lshl_or_b32 v5, v13, 16, v5
	v_addc_co_u32_e32 v22, vcc, v22, v16, vcc
	global_store_dword v[21:22], v5, off
	v_and_or_b32 v5, v11, s15, v10
	v_cmp_ne_u32_e32 vcc, 0, v5
	v_cndmask_b32_e64 v5, 0, 1, vcc
	v_lshrrev_b32_e32 v10, 8, v11
	v_bfe_u32 v13, v11, 20, 11
	v_and_or_b32 v5, v10, s10, v5
	v_sub_u32_e32 v23, 0x3f1, v13
	v_or_b32_e32 v10, 0x1000, v5
	v_med3_i32 v23, v23, 0, 13
	v_lshrrev_b32_e32 v24, v23, v10
	v_lshlrev_b32_e32 v23, v23, v24
	v_mul_f16_sdwa v7, v129, v7 dst_sel:DWORD dst_unused:UNUSED_PAD src0_sel:WORD_1 src1_sel:DWORD
	v_cmp_ne_u32_e32 vcc, v23, v10
	v_fma_f16 v7, v129, v26, -v7
	v_cndmask_b32_e64 v10, 0, 1, vcc
	v_add_u32_e32 v13, 0xfffffc10, v13
	v_cvt_f32_f16_e32 v7, v7
	v_or_b32_e32 v10, v24, v10
	v_lshl_or_b32 v23, v13, 12, v5
	v_cmp_gt_i32_e32 vcc, 1, v13
	v_cndmask_b32_e32 v10, v23, v10, vcc
	v_and_b32_e32 v23, 7, v10
	v_cmp_lt_i32_e32 vcc, 5, v23
	v_cmp_eq_u32_e64 s[2:3], 3, v23
	v_cvt_f64_f32_e32 v[23:24], v7
	v_lshrrev_b32_e32 v10, 2, v10
	s_or_b64 vcc, s[2:3], vcc
	v_addc_co_u32_e32 v7, vcc, 0, v10, vcc
	v_mul_f64 v[23:24], v[23:24], s[12:13]
	v_cmp_gt_i32_e32 vcc, 31, v13
	v_cndmask_b32_e32 v7, v15, v7, vcc
	v_cmp_ne_u32_e32 vcc, 0, v5
	v_cndmask_b32_e64 v5, 0, 1, vcc
	v_lshl_or_b32 v5, v5, 9, v15
	v_cmp_eq_u32_e32 vcc, s11, v13
	v_cndmask_b32_e32 v5, v7, v5, vcc
	v_lshrrev_b32_e32 v7, 16, v11
	v_and_or_b32 v5, v7, s14, v5
	v_and_or_b32 v7, v24, s15, v23
	v_cmp_ne_u32_e32 vcc, 0, v7
	v_cndmask_b32_e64 v7, 0, 1, vcc
	v_lshrrev_b32_e32 v10, 8, v24
	v_bfe_u32 v11, v24, 20, 11
	v_and_or_b32 v7, v10, s10, v7
	v_sub_u32_e32 v13, 0x3f1, v11
	v_or_b32_e32 v10, 0x1000, v7
	v_med3_i32 v13, v13, 0, 13
	v_lshrrev_b32_e32 v23, v13, v10
	v_lshlrev_b32_e32 v13, v13, v23
	v_cmp_ne_u32_e32 vcc, v13, v10
	v_cndmask_b32_e64 v10, 0, 1, vcc
	v_add_u32_e32 v13, 0xfffffc10, v11
	v_or_b32_e32 v10, v23, v10
	v_lshl_or_b32 v11, v13, 12, v7
	v_cmp_gt_i32_e32 vcc, 1, v13
	v_cndmask_b32_e32 v10, v11, v10, vcc
	v_and_b32_e32 v11, 7, v10
	v_cmp_lt_i32_e32 vcc, 5, v11
	v_cmp_eq_u32_e64 s[2:3], 3, v11
	v_lshrrev_b32_e32 v10, 2, v10
	s_or_b64 vcc, s[2:3], vcc
	v_addc_co_u32_e32 v10, vcc, 0, v10, vcc
	v_cmp_gt_i32_e32 vcc, 31, v13
	v_lshrrev_b32_e32 v25, 16, v12
	v_cndmask_b32_e32 v23, v15, v10, vcc
	v_mul_f16_sdwa v10, v126, v25 dst_sel:DWORD dst_unused:UNUSED_PAD src0_sel:WORD_1 src1_sel:DWORD
	v_fma_f16 v10, v126, v12, v10
	v_cvt_f32_f16_e32 v10, v10
	v_cmp_ne_u32_e32 vcc, 0, v7
	v_cndmask_b32_e64 v7, 0, 1, vcc
	v_lshl_or_b32 v7, v7, 9, v15
	v_cvt_f64_f32_e32 v[10:11], v10
	v_cmp_eq_u32_e32 vcc, s11, v13
	v_cndmask_b32_e32 v7, v23, v7, vcc
	v_lshrrev_b32_e32 v13, 16, v24
	v_mul_f64 v[10:11], v[10:11], s[12:13]
	v_and_or_b32 v7, v13, s14, v7
	v_and_b32_e32 v5, 0xffff, v5
	v_add_co_u32_e32 v21, vcc, s6, v21
	v_lshl_or_b32 v5, v7, 16, v5
	v_addc_co_u32_e32 v22, vcc, v22, v16, vcc
	global_store_dword v[21:22], v5, off
	v_and_or_b32 v5, v11, s15, v10
	v_cmp_ne_u32_e32 vcc, 0, v5
	v_cndmask_b32_e64 v5, 0, 1, vcc
	v_lshrrev_b32_e32 v7, 8, v11
	v_bfe_u32 v10, v11, 20, 11
	v_and_or_b32 v5, v7, s10, v5
	v_sub_u32_e32 v13, 0x3f1, v10
	v_or_b32_e32 v7, 0x1000, v5
	v_med3_i32 v13, v13, 0, 13
	v_lshrrev_b32_e32 v23, v13, v7
	v_lshlrev_b32_e32 v13, v13, v23
	v_mul_f16_sdwa v12, v126, v12 dst_sel:DWORD dst_unused:UNUSED_PAD src0_sel:WORD_1 src1_sel:DWORD
	v_cmp_ne_u32_e32 vcc, v13, v7
	v_fma_f16 v12, v126, v25, -v12
	v_cndmask_b32_e64 v7, 0, 1, vcc
	v_add_u32_e32 v10, 0xfffffc10, v10
	v_cvt_f32_f16_e32 v12, v12
	v_or_b32_e32 v7, v23, v7
	v_lshl_or_b32 v13, v10, 12, v5
	v_cmp_gt_i32_e32 vcc, 1, v10
	v_cndmask_b32_e32 v7, v13, v7, vcc
	v_and_b32_e32 v13, 7, v7
	v_cmp_lt_i32_e32 vcc, 5, v13
	v_cmp_eq_u32_e64 s[2:3], 3, v13
	v_cvt_f64_f32_e32 v[12:13], v12
	v_lshrrev_b32_e32 v7, 2, v7
	s_or_b64 vcc, s[2:3], vcc
	v_addc_co_u32_e32 v7, vcc, 0, v7, vcc
	v_mul_f64 v[12:13], v[12:13], s[12:13]
	v_cmp_gt_i32_e32 vcc, 31, v10
	v_cndmask_b32_e32 v7, v15, v7, vcc
	v_cmp_ne_u32_e32 vcc, 0, v5
	v_cndmask_b32_e64 v5, 0, 1, vcc
	v_lshl_or_b32 v5, v5, 9, v15
	v_cmp_eq_u32_e32 vcc, s11, v10
	v_cndmask_b32_e32 v5, v7, v5, vcc
	v_lshrrev_b32_e32 v7, 16, v11
	v_and_or_b32 v5, v7, s14, v5
	v_and_or_b32 v7, v13, s15, v12
	v_cmp_ne_u32_e32 vcc, 0, v7
	v_cndmask_b32_e64 v7, 0, 1, vcc
	v_lshrrev_b32_e32 v10, 8, v13
	v_bfe_u32 v11, v13, 20, 11
	v_and_or_b32 v7, v10, s10, v7
	v_sub_u32_e32 v12, 0x3f1, v11
	v_or_b32_e32 v10, 0x1000, v7
	v_med3_i32 v12, v12, 0, 13
	v_lshrrev_b32_e32 v23, v12, v10
	v_lshlrev_b32_e32 v12, v12, v23
	v_cmp_ne_u32_e32 vcc, v12, v10
	v_cndmask_b32_e64 v10, 0, 1, vcc
	v_add_u32_e32 v12, 0xfffffc10, v11
	v_or_b32_e32 v10, v23, v10
	v_lshl_or_b32 v11, v12, 12, v7
	v_cmp_gt_i32_e32 vcc, 1, v12
	v_cndmask_b32_e32 v10, v11, v10, vcc
	v_and_b32_e32 v11, 7, v10
	v_cmp_lt_i32_e32 vcc, 5, v11
	v_cmp_eq_u32_e64 s[2:3], 3, v11
	v_lshrrev_b32_e32 v23, 2, v10
	ds_read2_b32 v[10:11], v73 offset0:36 offset1:96
	s_or_b64 vcc, s[2:3], vcc
	v_addc_co_u32_e32 v23, vcc, 0, v23, vcc
	v_cmp_gt_i32_e32 vcc, 31, v12
	s_waitcnt lgkmcnt(0)
	v_lshrrev_b32_e32 v26, 16, v10
	v_cndmask_b32_e32 v25, v15, v23, vcc
	v_mul_f16_sdwa v23, v125, v26 dst_sel:DWORD dst_unused:UNUSED_PAD src0_sel:WORD_1 src1_sel:DWORD
	v_fma_f16 v23, v125, v10, v23
	v_cvt_f32_f16_e32 v23, v23
	v_cmp_ne_u32_e32 vcc, 0, v7
	v_cndmask_b32_e64 v7, 0, 1, vcc
	v_lshl_or_b32 v7, v7, 9, v15
	v_cvt_f64_f32_e32 v[23:24], v23
	v_cmp_eq_u32_e32 vcc, s11, v12
	v_cndmask_b32_e32 v7, v25, v7, vcc
	v_lshrrev_b32_e32 v12, 16, v13
	v_and_or_b32 v7, v12, s14, v7
	v_mul_f64 v[12:13], v[23:24], s[12:13]
	v_and_b32_e32 v5, 0xffff, v5
	v_add_co_u32_e32 v21, vcc, s6, v21
	v_lshl_or_b32 v5, v7, 16, v5
	v_addc_co_u32_e32 v22, vcc, v22, v16, vcc
	global_store_dword v[21:22], v5, off
	v_and_or_b32 v5, v13, s15, v12
	v_cmp_ne_u32_e32 vcc, 0, v5
	v_cndmask_b32_e64 v5, 0, 1, vcc
	v_lshrrev_b32_e32 v7, 8, v13
	v_bfe_u32 v12, v13, 20, 11
	v_and_or_b32 v5, v7, s10, v5
	v_sub_u32_e32 v23, 0x3f1, v12
	v_or_b32_e32 v7, 0x1000, v5
	v_med3_i32 v23, v23, 0, 13
	v_lshrrev_b32_e32 v24, v23, v7
	v_lshlrev_b32_e32 v23, v23, v24
	v_mul_f16_sdwa v10, v125, v10 dst_sel:DWORD dst_unused:UNUSED_PAD src0_sel:WORD_1 src1_sel:DWORD
	v_cmp_ne_u32_e32 vcc, v23, v7
	v_fma_f16 v10, v125, v26, -v10
	v_cndmask_b32_e64 v7, 0, 1, vcc
	v_add_u32_e32 v12, 0xfffffc10, v12
	v_cvt_f32_f16_e32 v10, v10
	v_or_b32_e32 v7, v24, v7
	v_lshl_or_b32 v23, v12, 12, v5
	v_cmp_gt_i32_e32 vcc, 1, v12
	v_cndmask_b32_e32 v7, v23, v7, vcc
	v_and_b32_e32 v23, 7, v7
	v_cmp_lt_i32_e32 vcc, 5, v23
	v_cmp_eq_u32_e64 s[2:3], 3, v23
	v_cvt_f64_f32_e32 v[23:24], v10
	v_lshrrev_b32_e32 v7, 2, v7
	s_or_b64 vcc, s[2:3], vcc
	v_addc_co_u32_e32 v7, vcc, 0, v7, vcc
	v_mul_f64 v[23:24], v[23:24], s[12:13]
	v_cmp_gt_i32_e32 vcc, 31, v12
	v_cndmask_b32_e32 v7, v15, v7, vcc
	v_cmp_ne_u32_e32 vcc, 0, v5
	v_cndmask_b32_e64 v5, 0, 1, vcc
	v_lshl_or_b32 v5, v5, 9, v15
	v_cmp_eq_u32_e32 vcc, s11, v12
	v_cndmask_b32_e32 v5, v7, v5, vcc
	v_lshrrev_b32_e32 v7, 16, v13
	v_and_or_b32 v5, v7, s14, v5
	v_and_or_b32 v7, v24, s15, v23
	v_cmp_ne_u32_e32 vcc, 0, v7
	v_cndmask_b32_e64 v7, 0, 1, vcc
	v_lshrrev_b32_e32 v10, 8, v24
	v_bfe_u32 v12, v24, 20, 11
	v_and_or_b32 v7, v10, s10, v7
	v_sub_u32_e32 v13, 0x3f1, v12
	v_or_b32_e32 v10, 0x1000, v7
	v_med3_i32 v13, v13, 0, 13
	v_lshrrev_b32_e32 v23, v13, v10
	v_lshlrev_b32_e32 v13, v13, v23
	v_cmp_ne_u32_e32 vcc, v13, v10
	v_cndmask_b32_e64 v10, 0, 1, vcc
	v_or_b32_e32 v10, v23, v10
	v_add_u32_e32 v23, 0xfffffc10, v12
	v_lshl_or_b32 v12, v23, 12, v7
	v_cmp_gt_i32_e32 vcc, 1, v23
	v_cndmask_b32_e32 v10, v12, v10, vcc
	v_and_b32_e32 v12, 7, v10
	v_lshrrev_b32_e32 v25, 16, v14
	v_cmp_lt_i32_e32 vcc, 5, v12
	v_cmp_eq_u32_e64 s[2:3], 3, v12
	v_mul_f16_sdwa v12, v124, v25 dst_sel:DWORD dst_unused:UNUSED_PAD src0_sel:WORD_1 src1_sel:DWORD
	v_fma_f16 v12, v124, v14, v12
	v_cvt_f32_f16_e32 v12, v12
	v_lshrrev_b32_e32 v10, 2, v10
	s_or_b64 vcc, s[2:3], vcc
	v_addc_co_u32_e32 v10, vcc, 0, v10, vcc
	v_cvt_f64_f32_e32 v[12:13], v12
	v_cmp_gt_i32_e32 vcc, 31, v23
	v_cndmask_b32_e32 v10, v15, v10, vcc
	v_cmp_ne_u32_e32 vcc, 0, v7
	v_mul_f64 v[12:13], v[12:13], s[12:13]
	v_cndmask_b32_e64 v7, 0, 1, vcc
	v_lshl_or_b32 v7, v7, 9, v15
	v_cmp_eq_u32_e32 vcc, s11, v23
	v_cndmask_b32_e32 v7, v10, v7, vcc
	v_lshrrev_b32_e32 v10, 16, v24
	v_and_or_b32 v7, v10, s14, v7
	v_and_b32_e32 v5, 0xffff, v5
	v_add_co_u32_e32 v21, vcc, s6, v21
	v_lshl_or_b32 v5, v7, 16, v5
	v_addc_co_u32_e32 v22, vcc, v22, v16, vcc
	global_store_dword v[21:22], v5, off
	v_and_or_b32 v5, v13, s15, v12
	v_cmp_ne_u32_e32 vcc, 0, v5
	v_cndmask_b32_e64 v5, 0, 1, vcc
	v_lshrrev_b32_e32 v7, 8, v13
	v_bfe_u32 v10, v13, 20, 11
	v_and_or_b32 v5, v7, s10, v5
	v_sub_u32_e32 v12, 0x3f1, v10
	v_mul_f16_sdwa v14, v124, v14 dst_sel:DWORD dst_unused:UNUSED_PAD src0_sel:WORD_1 src1_sel:DWORD
	v_or_b32_e32 v7, 0x1000, v5
	v_med3_i32 v12, v12, 0, 13
	v_fma_f16 v14, v124, v25, -v14
	v_lshrrev_b32_e32 v23, v12, v7
	v_cvt_f32_f16_e32 v14, v14
	v_lshlrev_b32_e32 v12, v12, v23
	v_cmp_ne_u32_e32 vcc, v12, v7
	v_cndmask_b32_e64 v7, 0, 1, vcc
	v_or_b32_e32 v7, v23, v7
	v_add_u32_e32 v10, 0xfffffc10, v10
	v_cvt_f64_f32_e32 v[23:24], v14
	v_lshl_or_b32 v12, v10, 12, v5
	v_cmp_gt_i32_e32 vcc, 1, v10
	v_cndmask_b32_e32 v7, v12, v7, vcc
	v_and_b32_e32 v12, 7, v7
	v_cmp_lt_i32_e32 vcc, 5, v12
	v_cmp_eq_u32_e64 s[2:3], 3, v12
	v_mul_f64 v[23:24], v[23:24], s[12:13]
	v_lshrrev_b32_e32 v7, 2, v7
	s_or_b64 vcc, s[2:3], vcc
	v_addc_co_u32_e32 v7, vcc, 0, v7, vcc
	v_cmp_gt_i32_e32 vcc, 31, v10
	v_cndmask_b32_e32 v7, v15, v7, vcc
	v_cmp_ne_u32_e32 vcc, 0, v5
	v_cndmask_b32_e64 v5, 0, 1, vcc
	v_lshl_or_b32 v5, v5, 9, v15
	v_cmp_eq_u32_e32 vcc, s11, v10
	v_cndmask_b32_e32 v5, v7, v5, vcc
	v_lshrrev_b32_e32 v7, 16, v13
	v_and_or_b32 v5, v7, s14, v5
	v_and_or_b32 v7, v24, s15, v23
	v_cmp_ne_u32_e32 vcc, 0, v7
	v_cndmask_b32_e64 v7, 0, 1, vcc
	v_lshrrev_b32_e32 v10, 8, v24
	v_bfe_u32 v12, v24, 20, 11
	v_and_or_b32 v7, v10, s10, v7
	v_sub_u32_e32 v13, 0x3f1, v12
	v_or_b32_e32 v10, 0x1000, v7
	v_med3_i32 v13, v13, 0, 13
	v_lshrrev_b32_e32 v14, v13, v10
	v_lshlrev_b32_e32 v13, v13, v14
	v_cmp_ne_u32_e32 vcc, v13, v10
	v_cndmask_b32_e64 v10, 0, 1, vcc
	v_or_b32_e32 v10, v14, v10
	v_add_u32_e32 v14, 0xfffffc10, v12
	v_lshl_or_b32 v12, v14, 12, v7
	v_cmp_gt_i32_e32 vcc, 1, v14
	v_cndmask_b32_e32 v10, v12, v10, vcc
	v_and_b32_e32 v12, 7, v10
	v_cmp_lt_i32_e32 vcc, 5, v12
	v_cmp_eq_u32_e64 s[2:3], 3, v12
	ds_read2_b32 v[12:13], v72 offset0:84 offset1:144
	v_lshrrev_b32_e32 v10, 2, v10
	s_or_b64 vcc, s[2:3], vcc
	v_addc_co_u32_e32 v10, vcc, 0, v10, vcc
	s_waitcnt lgkmcnt(0)
	v_lshrrev_b32_e32 v27, 16, v12
	v_mul_f16_sdwa v23, v123, v27 dst_sel:DWORD dst_unused:UNUSED_PAD src0_sel:WORD_1 src1_sel:DWORD
	v_fma_f16 v23, v123, v12, v23
	v_cvt_f32_f16_e32 v23, v23
	v_cmp_gt_i32_e32 vcc, 31, v14
	v_cndmask_b32_e32 v10, v15, v10, vcc
	v_cmp_ne_u32_e32 vcc, 0, v7
	v_cvt_f64_f32_e32 v[25:26], v23
	v_cndmask_b32_e64 v7, 0, 1, vcc
	v_lshl_or_b32 v7, v7, 9, v15
	v_cmp_eq_u32_e32 vcc, s11, v14
	v_cndmask_b32_e32 v7, v10, v7, vcc
	v_lshrrev_b32_e32 v10, 16, v24
	v_mul_f64 v[23:24], v[25:26], s[12:13]
	v_and_or_b32 v7, v10, s14, v7
	v_and_b32_e32 v5, 0xffff, v5
	v_add_co_u32_e32 v21, vcc, s6, v21
	v_lshl_or_b32 v5, v7, 16, v5
	v_addc_co_u32_e32 v22, vcc, v22, v16, vcc
	global_store_dword v[21:22], v5, off
	v_and_or_b32 v5, v24, s15, v23
	v_cmp_ne_u32_e32 vcc, 0, v5
	v_cndmask_b32_e64 v5, 0, 1, vcc
	v_lshrrev_b32_e32 v7, 8, v24
	v_bfe_u32 v10, v24, 20, 11
	v_mul_f16_sdwa v12, v123, v12 dst_sel:DWORD dst_unused:UNUSED_PAD src0_sel:WORD_1 src1_sel:DWORD
	v_and_or_b32 v5, v7, s10, v5
	v_sub_u32_e32 v14, 0x3f1, v10
	v_fma_f16 v12, v123, v27, -v12
	v_or_b32_e32 v7, 0x1000, v5
	v_med3_i32 v14, v14, 0, 13
	v_cvt_f32_f16_e32 v12, v12
	v_lshrrev_b32_e32 v23, v14, v7
	v_lshlrev_b32_e32 v14, v14, v23
	v_cmp_ne_u32_e32 vcc, v14, v7
	v_cndmask_b32_e64 v7, 0, 1, vcc
	v_add_u32_e32 v10, 0xfffffc10, v10
	v_cvt_f64_f32_e32 v[25:26], v12
	v_or_b32_e32 v7, v23, v7
	v_lshl_or_b32 v14, v10, 12, v5
	v_cmp_gt_i32_e32 vcc, 1, v10
	v_cndmask_b32_e32 v7, v14, v7, vcc
	v_and_b32_e32 v14, 7, v7
	v_cmp_lt_i32_e32 vcc, 5, v14
	v_cmp_eq_u32_e64 s[2:3], 3, v14
	v_mul_f64 v[25:26], v[25:26], s[12:13]
	v_lshrrev_b32_e32 v7, 2, v7
	s_or_b64 vcc, s[2:3], vcc
	v_addc_co_u32_e32 v7, vcc, 0, v7, vcc
	v_cmp_gt_i32_e32 vcc, 31, v10
	v_cndmask_b32_e32 v7, v15, v7, vcc
	v_cmp_ne_u32_e32 vcc, 0, v5
	v_cndmask_b32_e64 v5, 0, 1, vcc
	v_lshl_or_b32 v5, v5, 9, v15
	v_cmp_eq_u32_e32 vcc, s11, v10
	v_cndmask_b32_e32 v5, v7, v5, vcc
	v_lshrrev_b32_e32 v7, 16, v24
	v_and_or_b32 v5, v7, s14, v5
	v_and_or_b32 v7, v26, s15, v25
	v_cmp_ne_u32_e32 vcc, 0, v7
	v_cndmask_b32_e64 v7, 0, 1, vcc
	v_lshrrev_b32_e32 v10, 8, v26
	v_bfe_u32 v12, v26, 20, 11
	v_and_or_b32 v7, v10, s10, v7
	v_sub_u32_e32 v14, 0x3f1, v12
	v_or_b32_e32 v10, 0x1000, v7
	v_med3_i32 v14, v14, 0, 13
	v_lshrrev_b32_e32 v23, v14, v10
	v_lshlrev_b32_e32 v14, v14, v23
	v_cmp_ne_u32_e32 vcc, v14, v10
	v_cndmask_b32_e64 v10, 0, 1, vcc
	v_add_u32_e32 v12, 0xfffffc10, v12
	v_or_b32_e32 v10, v23, v10
	v_lshl_or_b32 v14, v12, 12, v7
	v_cmp_gt_i32_e32 vcc, 1, v12
	v_cndmask_b32_e32 v10, v14, v10, vcc
	v_and_b32_e32 v14, 7, v10
	v_cmp_lt_i32_e32 vcc, 5, v14
	v_cmp_eq_u32_e64 s[2:3], 3, v14
	v_lshrrev_b32_e32 v14, 16, v0
	v_mul_f16_sdwa v23, v122, v14 dst_sel:DWORD dst_unused:UNUSED_PAD src0_sel:WORD_1 src1_sel:DWORD
	v_fma_f16 v23, v122, v0, v23
	v_cvt_f32_f16_e32 v23, v23
	v_lshrrev_b32_e32 v10, 2, v10
	s_or_b64 vcc, s[2:3], vcc
	v_addc_co_u32_e32 v10, vcc, 0, v10, vcc
	v_cvt_f64_f32_e32 v[23:24], v23
	v_cmp_gt_i32_e32 vcc, 31, v12
	v_cndmask_b32_e32 v10, v15, v10, vcc
	v_cmp_ne_u32_e32 vcc, 0, v7
	v_mul_f64 v[23:24], v[23:24], s[12:13]
	v_cndmask_b32_e64 v7, 0, 1, vcc
	v_lshl_or_b32 v7, v7, 9, v15
	v_cmp_eq_u32_e32 vcc, s11, v12
	v_cndmask_b32_e32 v7, v10, v7, vcc
	v_lshrrev_b32_e32 v10, 16, v26
	v_and_or_b32 v7, v10, s14, v7
	v_and_b32_e32 v5, 0xffff, v5
	v_add_co_u32_e32 v21, vcc, s6, v21
	v_lshl_or_b32 v5, v7, 16, v5
	v_addc_co_u32_e32 v22, vcc, v22, v16, vcc
	global_store_dword v[21:22], v5, off
	v_and_or_b32 v5, v24, s15, v23
	v_cmp_ne_u32_e32 vcc, 0, v5
	v_cndmask_b32_e64 v5, 0, 1, vcc
	v_lshrrev_b32_e32 v7, 8, v24
	v_bfe_u32 v10, v24, 20, 11
	v_mul_f16_sdwa v0, v122, v0 dst_sel:DWORD dst_unused:UNUSED_PAD src0_sel:WORD_1 src1_sel:DWORD
	v_and_or_b32 v5, v7, s10, v5
	v_sub_u32_e32 v12, 0x3f1, v10
	v_fma_f16 v0, v122, v14, -v0
	v_or_b32_e32 v7, 0x1000, v5
	v_med3_i32 v12, v12, 0, 13
	v_cvt_f32_f16_e32 v0, v0
	v_lshrrev_b32_e32 v23, v12, v7
	v_lshlrev_b32_e32 v12, v12, v23
	v_cmp_ne_u32_e32 vcc, v12, v7
	v_cndmask_b32_e64 v7, 0, 1, vcc
	v_add_u32_e32 v10, 0xfffffc10, v10
	v_cvt_f64_f32_e32 v[25:26], v0
	v_or_b32_e32 v7, v23, v7
	v_lshl_or_b32 v12, v10, 12, v5
	v_cmp_gt_i32_e32 vcc, 1, v10
	v_cndmask_b32_e32 v7, v12, v7, vcc
	v_and_b32_e32 v12, 7, v7
	v_cmp_lt_i32_e32 vcc, 5, v12
	v_cmp_eq_u32_e64 s[2:3], 3, v12
	v_mul_f64 v[25:26], v[25:26], s[12:13]
	v_lshrrev_b32_e32 v7, 2, v7
	s_or_b64 vcc, s[2:3], vcc
	v_addc_co_u32_e32 v0, vcc, 0, v7, vcc
	v_cmp_gt_i32_e32 vcc, 31, v10
	v_cndmask_b32_e32 v0, v15, v0, vcc
	v_cmp_ne_u32_e32 vcc, 0, v5
	v_cndmask_b32_e64 v5, 0, 1, vcc
	v_lshl_or_b32 v5, v5, 9, v15
	v_cmp_eq_u32_e32 vcc, s11, v10
	v_cndmask_b32_e32 v0, v0, v5, vcc
	v_lshrrev_b32_e32 v5, 16, v24
	v_and_or_b32 v0, v5, s14, v0
	v_and_or_b32 v5, v26, s15, v25
	v_cmp_ne_u32_e32 vcc, 0, v5
	v_cndmask_b32_e64 v5, 0, 1, vcc
	v_lshrrev_b32_e32 v7, 8, v26
	v_bfe_u32 v10, v26, 20, 11
	v_and_or_b32 v5, v7, s10, v5
	v_sub_u32_e32 v12, 0x3f1, v10
	v_or_b32_e32 v7, 0x1000, v5
	v_med3_i32 v12, v12, 0, 13
	v_lshrrev_b32_e32 v14, v12, v7
	v_lshlrev_b32_e32 v12, v12, v14
	v_cmp_ne_u32_e32 vcc, v12, v7
	v_cndmask_b32_e64 v7, 0, 1, vcc
	v_add_u32_e32 v10, 0xfffffc10, v10
	v_or_b32_e32 v7, v14, v7
	v_lshl_or_b32 v12, v10, 12, v5
	v_cmp_gt_i32_e32 vcc, 1, v10
	v_cndmask_b32_e32 v7, v12, v7, vcc
	v_and_b32_e32 v12, 7, v7
	v_cmp_lt_i32_e32 vcc, 5, v12
	v_cmp_eq_u32_e64 s[2:3], 3, v12
	v_lshrrev_b32_e32 v12, 16, v6
	v_mul_f16_sdwa v14, v120, v12 dst_sel:DWORD dst_unused:UNUSED_PAD src0_sel:WORD_1 src1_sel:DWORD
	v_fma_f16 v14, v120, v6, v14
	v_cvt_f32_f16_e32 v14, v14
	v_lshrrev_b32_e32 v7, 2, v7
	s_or_b64 vcc, s[2:3], vcc
	v_addc_co_u32_e32 v7, vcc, 0, v7, vcc
	v_cvt_f64_f32_e32 v[23:24], v14
	v_cmp_gt_i32_e32 vcc, 31, v10
	v_cndmask_b32_e32 v7, v15, v7, vcc
	v_cmp_ne_u32_e32 vcc, 0, v5
	v_mul_f64 v[23:24], v[23:24], s[12:13]
	v_cndmask_b32_e64 v5, 0, 1, vcc
	v_lshl_or_b32 v5, v5, 9, v15
	v_cmp_eq_u32_e32 vcc, s11, v10
	v_cndmask_b32_e32 v5, v7, v5, vcc
	v_lshrrev_b32_e32 v7, 16, v26
	v_and_or_b32 v5, v7, s14, v5
	v_and_b32_e32 v0, 0xffff, v0
	v_add_co_u32_e32 v21, vcc, s4, v21
	v_lshl_or_b32 v0, v5, 16, v0
	v_addc_co_u32_e32 v22, vcc, v22, v20, vcc
	global_store_dword v[21:22], v0, off
	v_and_or_b32 v0, v24, s15, v23
	v_cmp_ne_u32_e32 vcc, 0, v0
	v_cndmask_b32_e64 v0, 0, 1, vcc
	v_lshrrev_b32_e32 v5, 8, v24
	v_bfe_u32 v7, v24, 20, 11
	v_and_or_b32 v0, v5, s10, v0
	v_sub_u32_e32 v10, 0x3f1, v7
	v_or_b32_e32 v5, 0x1000, v0
	v_med3_i32 v10, v10, 0, 13
	v_lshrrev_b32_e32 v14, v10, v5
	v_lshlrev_b32_e32 v10, v10, v14
	v_mul_f16_sdwa v6, v120, v6 dst_sel:DWORD dst_unused:UNUSED_PAD src0_sel:WORD_1 src1_sel:DWORD
	v_cmp_ne_u32_e32 vcc, v10, v5
	v_fma_f16 v6, v120, v12, -v6
	v_cndmask_b32_e64 v5, 0, 1, vcc
	v_add_u32_e32 v7, 0xfffffc10, v7
	v_cvt_f32_f16_e32 v6, v6
	v_or_b32_e32 v5, v14, v5
	v_lshl_or_b32 v10, v7, 12, v0
	v_cmp_gt_i32_e32 vcc, 1, v7
	v_cndmask_b32_e32 v5, v10, v5, vcc
	v_and_b32_e32 v10, 7, v5
	v_cmp_lt_i32_e32 vcc, 5, v10
	v_cmp_eq_u32_e64 s[2:3], 3, v10
	v_lshrrev_b32_e32 v10, 2, v5
	v_cvt_f64_f32_e32 v[5:6], v6
	s_or_b64 vcc, s[2:3], vcc
	v_addc_co_u32_e32 v10, vcc, 0, v10, vcc
	v_mul_f64 v[5:6], v[5:6], s[12:13]
	v_cmp_gt_i32_e32 vcc, 31, v7
	v_cndmask_b32_e32 v10, v15, v10, vcc
	v_cmp_ne_u32_e32 vcc, 0, v0
	v_cndmask_b32_e64 v0, 0, 1, vcc
	v_lshl_or_b32 v0, v0, 9, v15
	v_cmp_eq_u32_e32 vcc, s11, v7
	v_cndmask_b32_e32 v0, v10, v0, vcc
	v_and_or_b32 v5, v6, s15, v5
	v_lshrrev_b32_e32 v7, 16, v24
	v_cmp_ne_u32_e32 vcc, 0, v5
	v_and_or_b32 v0, v7, s14, v0
	v_cndmask_b32_e64 v5, 0, 1, vcc
	v_lshrrev_b32_e32 v7, 8, v6
	v_bfe_u32 v10, v6, 20, 11
	v_and_or_b32 v5, v7, s10, v5
	v_sub_u32_e32 v12, 0x3f1, v10
	v_or_b32_e32 v7, 0x1000, v5
	v_med3_i32 v12, v12, 0, 13
	v_lshrrev_b32_e32 v14, v12, v7
	v_lshlrev_b32_e32 v12, v12, v14
	v_cmp_ne_u32_e32 vcc, v12, v7
	v_cndmask_b32_e64 v7, 0, 1, vcc
	v_add_u32_e32 v10, 0xfffffc10, v10
	v_or_b32_e32 v7, v14, v7
	v_lshl_or_b32 v12, v10, 12, v5
	v_cmp_gt_i32_e32 vcc, 1, v10
	v_cndmask_b32_e32 v7, v12, v7, vcc
	v_and_b32_e32 v12, 7, v7
	v_cmp_lt_i32_e32 vcc, 5, v12
	v_cmp_eq_u32_e64 s[2:3], 3, v12
	v_lshrrev_b32_e32 v12, 16, v1
	v_mul_f16_sdwa v14, v119, v12 dst_sel:DWORD dst_unused:UNUSED_PAD src0_sel:WORD_1 src1_sel:DWORD
	v_fma_f16 v14, v119, v1, v14
	v_cvt_f32_f16_e32 v14, v14
	v_lshrrev_b32_e32 v7, 2, v7
	s_or_b64 vcc, s[2:3], vcc
	v_addc_co_u32_e32 v7, vcc, 0, v7, vcc
	v_cmp_gt_i32_e32 vcc, 31, v10
	v_cndmask_b32_e32 v7, v15, v7, vcc
	v_cmp_ne_u32_e32 vcc, 0, v5
	v_cvt_f64_f32_e32 v[23:24], v14
	v_cndmask_b32_e64 v5, 0, 1, vcc
	v_lshl_or_b32 v5, v5, 9, v15
	v_cmp_eq_u32_e32 vcc, s11, v10
	v_cndmask_b32_e32 v5, v7, v5, vcc
	v_lshrrev_b32_e32 v6, 16, v6
	v_and_or_b32 v7, v6, s14, v5
	v_mul_f64 v[5:6], v[23:24], s[12:13]
	v_and_b32_e32 v0, 0xffff, v0
	v_add_co_u32_e32 v20, vcc, s6, v21
	v_lshl_or_b32 v0, v7, 16, v0
	v_addc_co_u32_e32 v21, vcc, v22, v16, vcc
	global_store_dword v[20:21], v0, off
	v_and_or_b32 v0, v6, s15, v5
	v_cmp_ne_u32_e32 vcc, 0, v0
	v_cndmask_b32_e64 v0, 0, 1, vcc
	v_lshrrev_b32_e32 v5, 8, v6
	v_bfe_u32 v7, v6, 20, 11
	v_and_or_b32 v5, v5, s10, v0
	v_sub_u32_e32 v10, 0x3f1, v7
	v_or_b32_e32 v0, 0x1000, v5
	v_med3_i32 v10, v10, 0, 13
	v_lshrrev_b32_e32 v14, v10, v0
	v_lshlrev_b32_e32 v10, v10, v14
	v_mul_f16_sdwa v1, v119, v1 dst_sel:DWORD dst_unused:UNUSED_PAD src0_sel:WORD_1 src1_sel:DWORD
	v_cmp_ne_u32_e32 vcc, v10, v0
	v_fma_f16 v1, v119, v12, -v1
	v_cndmask_b32_e64 v0, 0, 1, vcc
	v_add_u32_e32 v7, 0xfffffc10, v7
	v_cvt_f32_f16_e32 v1, v1
	v_or_b32_e32 v0, v14, v0
	v_lshl_or_b32 v10, v7, 12, v5
	v_cmp_gt_i32_e32 vcc, 1, v7
	v_cndmask_b32_e32 v0, v10, v0, vcc
	v_and_b32_e32 v10, 7, v0
	v_cmp_lt_i32_e32 vcc, 5, v10
	v_cmp_eq_u32_e64 s[2:3], 3, v10
	v_lshrrev_b32_e32 v10, 2, v0
	v_cvt_f64_f32_e32 v[0:1], v1
	s_or_b64 vcc, s[2:3], vcc
	v_addc_co_u32_e32 v10, vcc, 0, v10, vcc
	v_mul_f64 v[0:1], v[0:1], s[12:13]
	v_cmp_gt_i32_e32 vcc, 31, v7
	v_cndmask_b32_e32 v10, v15, v10, vcc
	v_cmp_ne_u32_e32 vcc, 0, v5
	v_cndmask_b32_e64 v5, 0, 1, vcc
	v_lshl_or_b32 v5, v5, 9, v15
	v_cmp_eq_u32_e32 vcc, s11, v7
	v_cndmask_b32_e32 v5, v10, v5, vcc
	v_and_or_b32 v0, v1, s15, v0
	v_lshrrev_b32_e32 v6, 16, v6
	v_cmp_ne_u32_e32 vcc, 0, v0
	v_and_or_b32 v7, v6, s14, v5
	v_cndmask_b32_e64 v0, 0, 1, vcc
	v_lshrrev_b32_e32 v5, 8, v1
	v_bfe_u32 v6, v1, 20, 11
	v_and_or_b32 v0, v5, s10, v0
	v_sub_u32_e32 v10, 0x3f1, v6
	v_or_b32_e32 v5, 0x1000, v0
	v_med3_i32 v10, v10, 0, 13
	v_lshrrev_b32_e32 v12, v10, v5
	v_lshlrev_b32_e32 v10, v10, v12
	v_cmp_ne_u32_e32 vcc, v10, v5
	v_cndmask_b32_e64 v5, 0, 1, vcc
	v_add_u32_e32 v10, 0xfffffc10, v6
	v_or_b32_e32 v5, v12, v5
	v_lshl_or_b32 v6, v10, 12, v0
	v_cmp_gt_i32_e32 vcc, 1, v10
	v_cndmask_b32_e32 v5, v6, v5, vcc
	v_and_b32_e32 v6, 7, v5
	v_cmp_lt_i32_e32 vcc, 5, v6
	v_cmp_eq_u32_e64 s[2:3], 3, v6
	v_lshrrev_b32_e32 v5, 2, v5
	s_or_b64 vcc, s[2:3], vcc
	v_addc_co_u32_e32 v5, vcc, 0, v5, vcc
	v_cmp_gt_i32_e32 vcc, 31, v10
	v_lshrrev_b32_e32 v14, 16, v9
	v_cndmask_b32_e32 v12, v15, v5, vcc
	v_mul_f16_sdwa v5, v118, v14 dst_sel:DWORD dst_unused:UNUSED_PAD src0_sel:WORD_1 src1_sel:DWORD
	v_fma_f16 v5, v118, v9, v5
	v_cvt_f32_f16_e32 v5, v5
	v_cmp_ne_u32_e32 vcc, 0, v0
	v_cndmask_b32_e64 v0, 0, 1, vcc
	v_lshl_or_b32 v0, v0, 9, v15
	v_cvt_f64_f32_e32 v[5:6], v5
	v_cmp_eq_u32_e32 vcc, s11, v10
	v_cndmask_b32_e32 v0, v12, v0, vcc
	v_lshrrev_b32_e32 v1, 16, v1
	v_and_or_b32 v10, v1, s14, v0
	v_mul_f64 v[0:1], v[5:6], s[12:13]
	v_and_b32_e32 v5, 0xffff, v7
	v_lshl_or_b32 v7, v10, 16, v5
	v_add_co_u32_e32 v5, vcc, s6, v20
	v_addc_co_u32_e32 v6, vcc, v21, v16, vcc
	global_store_dword v[5:6], v7, off
	v_and_or_b32 v0, v1, s15, v0
	v_cmp_ne_u32_e32 vcc, 0, v0
	v_cndmask_b32_e64 v0, 0, 1, vcc
	v_lshrrev_b32_e32 v7, 8, v1
	v_bfe_u32 v10, v1, 20, 11
	v_and_or_b32 v0, v7, s10, v0
	v_sub_u32_e32 v12, 0x3f1, v10
	v_or_b32_e32 v7, 0x1000, v0
	v_med3_i32 v12, v12, 0, 13
	v_lshrrev_b32_e32 v20, v12, v7
	v_lshlrev_b32_e32 v12, v12, v20
	v_mul_f16_sdwa v9, v118, v9 dst_sel:DWORD dst_unused:UNUSED_PAD src0_sel:WORD_1 src1_sel:DWORD
	v_cmp_ne_u32_e32 vcc, v12, v7
	v_fma_f16 v9, v118, v14, -v9
	v_cndmask_b32_e64 v7, 0, 1, vcc
	v_add_u32_e32 v12, 0xfffffc10, v10
	v_cvt_f32_f16_e32 v9, v9
	v_or_b32_e32 v7, v20, v7
	v_lshl_or_b32 v10, v12, 12, v0
	v_cmp_gt_i32_e32 vcc, 1, v12
	v_cndmask_b32_e32 v7, v10, v7, vcc
	v_and_b32_e32 v10, 7, v7
	v_cmp_lt_i32_e32 vcc, 5, v10
	v_cmp_eq_u32_e64 s[2:3], 3, v10
	v_cvt_f64_f32_e32 v[9:10], v9
	v_lshrrev_b32_e32 v7, 2, v7
	s_or_b64 vcc, s[2:3], vcc
	v_addc_co_u32_e32 v7, vcc, 0, v7, vcc
	v_mul_f64 v[9:10], v[9:10], s[12:13]
	v_cmp_gt_i32_e32 vcc, 31, v12
	v_cndmask_b32_e32 v7, v15, v7, vcc
	v_cmp_ne_u32_e32 vcc, 0, v0
	v_cndmask_b32_e64 v0, 0, 1, vcc
	v_lshl_or_b32 v0, v0, 9, v15
	v_cmp_eq_u32_e32 vcc, s11, v12
	v_cndmask_b32_e32 v0, v7, v0, vcc
	v_lshrrev_b32_e32 v1, 16, v1
	v_and_or_b32 v7, v1, s14, v0
	v_and_or_b32 v0, v10, s15, v9
	v_cmp_ne_u32_e32 vcc, 0, v0
	v_cndmask_b32_e64 v0, 0, 1, vcc
	v_lshrrev_b32_e32 v1, 8, v10
	v_bfe_u32 v9, v10, 20, 11
	v_and_or_b32 v0, v1, s10, v0
	v_sub_u32_e32 v12, 0x3f1, v9
	v_or_b32_e32 v1, 0x1000, v0
	v_med3_i32 v12, v12, 0, 13
	v_lshrrev_b32_e32 v14, v12, v1
	v_lshlrev_b32_e32 v12, v12, v14
	v_cmp_ne_u32_e32 vcc, v12, v1
	v_cndmask_b32_e64 v1, 0, 1, vcc
	v_add_u32_e32 v9, 0xfffffc10, v9
	v_or_b32_e32 v1, v14, v1
	v_lshl_or_b32 v12, v9, 12, v0
	v_cmp_gt_i32_e32 vcc, 1, v9
	v_cndmask_b32_e32 v1, v12, v1, vcc
	v_and_b32_e32 v12, 7, v1
	v_cmp_lt_i32_e32 vcc, 5, v12
	v_cmp_eq_u32_e64 s[2:3], 3, v12
	v_lshrrev_b32_e32 v1, 2, v1
	s_or_b64 vcc, s[2:3], vcc
	v_addc_co_u32_e32 v1, vcc, 0, v1, vcc
	v_cmp_gt_i32_e32 vcc, 31, v9
	v_cndmask_b32_e32 v12, v15, v1, vcc
	v_cmp_ne_u32_e32 vcc, 0, v0
	v_cndmask_b32_e64 v14, 0, 1, vcc
	v_lshl_or_b32 v14, v14, 9, v15
	v_cmp_eq_u32_e32 vcc, s11, v9
	v_cndmask_b32_e32 v12, v12, v14, vcc
	v_lshrrev_b32_e32 v14, 16, v2
	v_mul_f16_sdwa v9, v116, v14 dst_sel:DWORD dst_unused:UNUSED_PAD src0_sel:WORD_1 src1_sel:DWORD
	v_fma_f16 v9, v116, v2, v9
	v_mad_u64_u32 v[0:1], s[2:3], s8, v121, 0
	v_cvt_f32_f16_e32 v9, v9
	v_and_b32_e32 v7, 0xffff, v7
	v_mad_u64_u32 v[20:21], s[2:3], s9, v121, v[1:2]
	v_lshrrev_b32_e32 v1, 16, v10
	v_cvt_f64_f32_e32 v[9:10], v9
	v_and_or_b32 v12, v1, s14, v12
	v_mov_b32_e32 v1, v20
	v_lshlrev_b64 v[0:1], 2, v[0:1]
	v_mul_f64 v[9:10], v[9:10], s[12:13]
	v_add_co_u32_e32 v0, vcc, v17, v0
	v_lshl_or_b32 v7, v12, 16, v7
	v_addc_co_u32_e32 v1, vcc, v18, v1, vcc
	global_store_dword v[0:1], v7, off
	v_mul_f16_sdwa v2, v116, v2 dst_sel:DWORD dst_unused:UNUSED_PAD src0_sel:WORD_1 src1_sel:DWORD
	v_and_or_b32 v0, v10, s15, v9
	v_cmp_ne_u32_e32 vcc, 0, v0
	v_cndmask_b32_e64 v0, 0, 1, vcc
	v_lshrrev_b32_e32 v1, 8, v10
	v_and_or_b32 v7, v1, s10, v0
	v_bfe_u32 v1, v10, 20, 11
	v_sub_u32_e32 v9, 0x3f1, v1
	v_or_b32_e32 v0, 0x1000, v7
	v_med3_i32 v9, v9, 0, 13
	v_lshrrev_b32_e32 v12, v9, v0
	v_lshlrev_b32_e32 v9, v9, v12
	v_cmp_ne_u32_e32 vcc, v9, v0
	v_fma_f16 v2, v116, v14, -v2
	v_cndmask_b32_e64 v0, 0, 1, vcc
	v_add_u32_e32 v9, 0xfffffc10, v1
	v_cvt_f32_f16_e32 v2, v2
	v_or_b32_e32 v0, v12, v0
	v_lshl_or_b32 v1, v9, 12, v7
	v_cmp_gt_i32_e32 vcc, 1, v9
	v_cndmask_b32_e32 v0, v1, v0, vcc
	v_and_b32_e32 v1, 7, v0
	v_cmp_lt_i32_e32 vcc, 5, v1
	v_cmp_eq_u32_e64 s[2:3], 3, v1
	v_lshrrev_b32_e32 v12, 2, v0
	v_cvt_f64_f32_e32 v[0:1], v2
	s_or_b64 vcc, s[2:3], vcc
	v_addc_co_u32_e32 v2, vcc, 0, v12, vcc
	v_mul_f64 v[0:1], v[0:1], s[12:13]
	v_cmp_gt_i32_e32 vcc, 31, v9
	v_cndmask_b32_e32 v2, v15, v2, vcc
	v_cmp_ne_u32_e32 vcc, 0, v7
	v_cndmask_b32_e64 v7, 0, 1, vcc
	v_lshl_or_b32 v7, v7, 9, v15
	v_cmp_eq_u32_e32 vcc, s11, v9
	v_cndmask_b32_e32 v2, v2, v7, vcc
	v_and_or_b32 v0, v1, s15, v0
	v_lshrrev_b32_e32 v7, 16, v10
	v_cmp_ne_u32_e32 vcc, 0, v0
	v_and_or_b32 v2, v7, s14, v2
	v_cndmask_b32_e64 v0, 0, 1, vcc
	v_lshrrev_b32_e32 v7, 8, v1
	v_bfe_u32 v9, v1, 20, 11
	v_and_or_b32 v0, v7, s10, v0
	v_sub_u32_e32 v10, 0x3f1, v9
	v_or_b32_e32 v7, 0x1000, v0
	v_med3_i32 v10, v10, 0, 13
	v_lshrrev_b32_e32 v12, v10, v7
	v_lshlrev_b32_e32 v10, v10, v12
	v_cmp_ne_u32_e32 vcc, v10, v7
	v_cndmask_b32_e64 v7, 0, 1, vcc
	v_or_b32_e32 v7, v12, v7
	v_add_u32_e32 v12, 0xfffffc10, v9
	v_lshl_or_b32 v9, v12, 12, v0
	v_cmp_gt_i32_e32 vcc, 1, v12
	v_cndmask_b32_e32 v7, v9, v7, vcc
	v_and_b32_e32 v9, 7, v7
	v_lshrrev_b32_e32 v14, 16, v8
	v_cmp_lt_i32_e32 vcc, 5, v9
	v_cmp_eq_u32_e64 s[2:3], 3, v9
	v_mul_f16_sdwa v9, v117, v14 dst_sel:DWORD dst_unused:UNUSED_PAD src0_sel:WORD_1 src1_sel:DWORD
	v_fma_f16 v9, v117, v8, v9
	v_cvt_f32_f16_e32 v9, v9
	v_lshrrev_b32_e32 v7, 2, v7
	s_or_b64 vcc, s[2:3], vcc
	v_addc_co_u32_e32 v7, vcc, 0, v7, vcc
	v_cmp_gt_i32_e32 vcc, 31, v12
	v_cvt_f64_f32_e32 v[9:10], v9
	v_cndmask_b32_e32 v7, v15, v7, vcc
	v_cmp_ne_u32_e32 vcc, 0, v0
	v_cndmask_b32_e64 v0, 0, 1, vcc
	v_lshl_or_b32 v0, v0, 9, v15
	v_cmp_eq_u32_e32 vcc, s11, v12
	v_cndmask_b32_e32 v7, v7, v0, vcc
	v_lshrrev_b32_e32 v12, 16, v1
	v_mul_f64 v[0:1], v[9:10], s[12:13]
	v_mad_u64_u32 v[5:6], s[2:3], s8, v19, v[5:6]
	v_and_or_b32 v7, v12, s14, v7
	v_and_b32_e32 v2, 0xffff, v2
	v_lshl_or_b32 v2, v7, 16, v2
	v_add_u32_e32 v6, s17, v6
	global_store_dword v[5:6], v2, off
	v_and_or_b32 v0, v1, s15, v0
	v_cmp_ne_u32_e32 vcc, 0, v0
	v_cndmask_b32_e64 v0, 0, 1, vcc
	v_lshrrev_b32_e32 v2, 8, v1
	v_bfe_u32 v7, v1, 20, 11
	v_and_or_b32 v0, v2, s10, v0
	v_sub_u32_e32 v9, 0x3f1, v7
	v_or_b32_e32 v2, 0x1000, v0
	v_med3_i32 v9, v9, 0, 13
	v_lshrrev_b32_e32 v10, v9, v2
	v_lshlrev_b32_e32 v9, v9, v10
	v_mul_f16_sdwa v8, v117, v8 dst_sel:DWORD dst_unused:UNUSED_PAD src0_sel:WORD_1 src1_sel:DWORD
	v_cmp_ne_u32_e32 vcc, v9, v2
	v_fma_f16 v8, v117, v14, -v8
	v_cndmask_b32_e64 v2, 0, 1, vcc
	v_add_u32_e32 v9, 0xfffffc10, v7
	v_cvt_f32_f16_e32 v8, v8
	v_or_b32_e32 v2, v10, v2
	v_lshl_or_b32 v7, v9, 12, v0
	v_cmp_gt_i32_e32 vcc, 1, v9
	v_cndmask_b32_e32 v2, v7, v2, vcc
	v_and_b32_e32 v7, 7, v2
	v_cmp_lt_i32_e32 vcc, 5, v7
	v_cmp_eq_u32_e64 s[2:3], 3, v7
	v_cvt_f64_f32_e32 v[7:8], v8
	v_lshrrev_b32_e32 v2, 2, v2
	s_or_b64 vcc, s[2:3], vcc
	v_addc_co_u32_e32 v2, vcc, 0, v2, vcc
	v_mul_f64 v[7:8], v[7:8], s[12:13]
	v_cmp_gt_i32_e32 vcc, 31, v9
	v_cndmask_b32_e32 v2, v15, v2, vcc
	v_cmp_ne_u32_e32 vcc, 0, v0
	v_cndmask_b32_e64 v0, 0, 1, vcc
	v_lshl_or_b32 v0, v0, 9, v15
	v_cmp_eq_u32_e32 vcc, s11, v9
	v_cndmask_b32_e32 v0, v2, v0, vcc
	v_lshrrev_b32_e32 v1, 16, v1
	v_and_or_b32 v2, v1, s14, v0
	v_and_or_b32 v0, v8, s15, v7
	v_cmp_ne_u32_e32 vcc, 0, v0
	v_cndmask_b32_e64 v0, 0, 1, vcc
	v_lshrrev_b32_e32 v1, 8, v8
	v_bfe_u32 v7, v8, 20, 11
	v_and_or_b32 v0, v1, s10, v0
	v_sub_u32_e32 v9, 0x3f1, v7
	v_or_b32_e32 v1, 0x1000, v0
	v_med3_i32 v9, v9, 0, 13
	v_lshrrev_b32_e32 v10, v9, v1
	v_lshlrev_b32_e32 v9, v9, v10
	v_cmp_ne_u32_e32 vcc, v9, v1
	v_cndmask_b32_e64 v1, 0, 1, vcc
	v_add_u32_e32 v7, 0xfffffc10, v7
	v_or_b32_e32 v1, v10, v1
	v_lshl_or_b32 v9, v7, 12, v0
	v_cmp_gt_i32_e32 vcc, 1, v7
	v_cndmask_b32_e32 v1, v9, v1, vcc
	v_and_b32_e32 v9, 7, v1
	v_cmp_lt_i32_e32 vcc, 5, v9
	v_cmp_eq_u32_e64 s[2:3], 3, v9
	v_lshrrev_b32_e32 v1, 2, v1
	s_or_b64 vcc, s[2:3], vcc
	v_addc_co_u32_e32 v1, vcc, 0, v1, vcc
	v_cmp_gt_i32_e32 vcc, 31, v7
	v_lshrrev_b32_e32 v10, 16, v3
	v_cndmask_b32_e32 v9, v15, v1, vcc
	v_mul_f16_sdwa v1, v114, v10 dst_sel:DWORD dst_unused:UNUSED_PAD src0_sel:WORD_1 src1_sel:DWORD
	v_fma_f16 v1, v114, v3, v1
	v_cvt_f32_f16_e32 v1, v1
	v_cmp_ne_u32_e32 vcc, 0, v0
	v_cndmask_b32_e64 v0, 0, 1, vcc
	v_lshl_or_b32 v12, v0, 9, v15
	v_cvt_f64_f32_e32 v[0:1], v1
	v_cmp_eq_u32_e32 vcc, s11, v7
	v_cndmask_b32_e32 v7, v9, v12, vcc
	v_lshrrev_b32_e32 v8, 16, v8
	v_mul_f64 v[0:1], v[0:1], s[12:13]
	v_add_co_u32_e32 v5, vcc, s6, v5
	v_and_or_b32 v7, v8, s14, v7
	v_and_b32_e32 v2, 0xffff, v2
	v_addc_co_u32_e32 v6, vcc, v6, v16, vcc
	v_lshl_or_b32 v2, v7, 16, v2
	v_and_or_b32 v0, v1, s15, v0
	v_cmp_ne_u32_e32 vcc, 0, v0
	global_store_dword v[5:6], v2, off
	v_cndmask_b32_e64 v0, 0, 1, vcc
	v_lshrrev_b32_e32 v2, 8, v1
	v_bfe_u32 v7, v1, 20, 11
	v_and_or_b32 v0, v2, s10, v0
	v_sub_u32_e32 v8, 0x3f1, v7
	v_or_b32_e32 v2, 0x1000, v0
	v_med3_i32 v8, v8, 0, 13
	v_lshrrev_b32_e32 v9, v8, v2
	v_lshlrev_b32_e32 v8, v8, v9
	v_mul_f16_sdwa v3, v114, v3 dst_sel:DWORD dst_unused:UNUSED_PAD src0_sel:WORD_1 src1_sel:DWORD
	v_cmp_ne_u32_e32 vcc, v8, v2
	v_fma_f16 v3, v114, v10, -v3
	v_cndmask_b32_e64 v2, 0, 1, vcc
	v_add_u32_e32 v7, 0xfffffc10, v7
	v_cvt_f32_f16_e32 v3, v3
	v_or_b32_e32 v2, v9, v2
	v_lshl_or_b32 v8, v7, 12, v0
	v_cmp_gt_i32_e32 vcc, 1, v7
	v_cndmask_b32_e32 v2, v8, v2, vcc
	v_and_b32_e32 v8, 7, v2
	v_cmp_lt_i32_e32 vcc, 5, v8
	v_cmp_eq_u32_e64 s[2:3], 3, v8
	v_lshrrev_b32_e32 v8, 2, v2
	v_cvt_f64_f32_e32 v[2:3], v3
	s_or_b64 vcc, s[2:3], vcc
	v_addc_co_u32_e32 v8, vcc, 0, v8, vcc
	v_mul_f64 v[2:3], v[2:3], s[12:13]
	v_cmp_gt_i32_e32 vcc, 31, v7
	v_cndmask_b32_e32 v8, v15, v8, vcc
	v_cmp_ne_u32_e32 vcc, 0, v0
	v_cndmask_b32_e64 v0, 0, 1, vcc
	v_lshl_or_b32 v0, v0, 9, v15
	v_cmp_eq_u32_e32 vcc, s11, v7
	v_cndmask_b32_e32 v0, v8, v0, vcc
	v_lshrrev_b32_e32 v1, 16, v1
	v_and_or_b32 v7, v1, s14, v0
	v_and_or_b32 v0, v3, s15, v2
	v_cmp_ne_u32_e32 vcc, 0, v0
	v_cndmask_b32_e64 v0, 0, 1, vcc
	v_lshrrev_b32_e32 v1, 8, v3
	v_bfe_u32 v2, v3, 20, 11
	v_and_or_b32 v0, v1, s10, v0
	v_sub_u32_e32 v8, 0x3f1, v2
	v_or_b32_e32 v1, 0x1000, v0
	v_med3_i32 v8, v8, 0, 13
	v_lshrrev_b32_e32 v9, v8, v1
	v_lshlrev_b32_e32 v8, v8, v9
	v_cmp_ne_u32_e32 vcc, v8, v1
	v_cndmask_b32_e64 v1, 0, 1, vcc
	v_add_u32_e32 v2, 0xfffffc10, v2
	v_or_b32_e32 v1, v9, v1
	v_lshl_or_b32 v8, v2, 12, v0
	v_cmp_gt_i32_e32 vcc, 1, v2
	v_cndmask_b32_e32 v1, v8, v1, vcc
	v_and_b32_e32 v8, 7, v1
	v_cmp_lt_i32_e32 vcc, 5, v8
	v_cmp_eq_u32_e64 s[2:3], 3, v8
	v_lshrrev_b32_e32 v1, 2, v1
	s_or_b64 vcc, s[2:3], vcc
	v_addc_co_u32_e32 v1, vcc, 0, v1, vcc
	v_cmp_gt_i32_e32 vcc, 31, v2
	v_lshrrev_b32_e32 v9, 16, v11
	v_cndmask_b32_e32 v8, v15, v1, vcc
	v_mul_f16_sdwa v1, v115, v9 dst_sel:DWORD dst_unused:UNUSED_PAD src0_sel:WORD_1 src1_sel:DWORD
	v_fma_f16 v1, v115, v11, v1
	v_cvt_f32_f16_e32 v1, v1
	v_cmp_ne_u32_e32 vcc, 0, v0
	v_cndmask_b32_e64 v0, 0, 1, vcc
	v_lshl_or_b32 v10, v0, 9, v15
	v_cvt_f64_f32_e32 v[0:1], v1
	v_cmp_eq_u32_e32 vcc, s11, v2
	v_cndmask_b32_e32 v2, v8, v10, vcc
	v_lshrrev_b32_e32 v3, 16, v3
	v_mul_f64 v[0:1], v[0:1], s[12:13]
	v_and_or_b32 v2, v3, s14, v2
	v_and_b32_e32 v3, 0xffff, v7
	v_lshl_or_b32 v7, v2, 16, v3
	v_add_co_u32_e32 v2, vcc, s6, v5
	v_addc_co_u32_e32 v3, vcc, v6, v16, vcc
	v_and_or_b32 v0, v1, s15, v0
	v_cmp_ne_u32_e32 vcc, 0, v0
	v_cndmask_b32_e64 v0, 0, 1, vcc
	v_lshrrev_b32_e32 v5, 8, v1
	v_bfe_u32 v6, v1, 20, 11
	global_store_dword v[2:3], v7, off
	v_and_or_b32 v0, v5, s10, v0
	v_sub_u32_e32 v7, 0x3f1, v6
	v_or_b32_e32 v5, 0x1000, v0
	v_med3_i32 v7, v7, 0, 13
	v_lshrrev_b32_e32 v8, v7, v5
	v_lshlrev_b32_e32 v7, v7, v8
	v_cmp_ne_u32_e32 vcc, v7, v5
	v_cndmask_b32_e64 v5, 0, 1, vcc
	v_or_b32_e32 v5, v8, v5
	v_mul_f16_sdwa v8, v115, v11 dst_sel:DWORD dst_unused:UNUSED_PAD src0_sel:WORD_1 src1_sel:DWORD
	v_fma_f16 v8, v115, v9, -v8
	v_add_u32_e32 v7, 0xfffffc10, v6
	v_cvt_f32_f16_e32 v8, v8
	v_lshl_or_b32 v6, v7, 12, v0
	v_cmp_gt_i32_e32 vcc, 1, v7
	v_cndmask_b32_e32 v5, v6, v5, vcc
	v_and_b32_e32 v6, 7, v5
	v_cmp_lt_i32_e32 vcc, 5, v6
	v_cmp_eq_u32_e64 s[2:3], 3, v6
	v_lshrrev_b32_e32 v9, 2, v5
	v_cvt_f64_f32_e32 v[5:6], v8
	s_or_b64 vcc, s[2:3], vcc
	v_addc_co_u32_e32 v8, vcc, 0, v9, vcc
	v_mul_f64 v[5:6], v[5:6], s[12:13]
	v_cmp_gt_i32_e32 vcc, 31, v7
	v_cndmask_b32_e32 v8, v15, v8, vcc
	v_cmp_ne_u32_e32 vcc, 0, v0
	v_cndmask_b32_e64 v0, 0, 1, vcc
	v_lshl_or_b32 v0, v0, 9, v15
	v_cmp_eq_u32_e32 vcc, s11, v7
	v_cndmask_b32_e32 v0, v8, v0, vcc
	v_lshrrev_b32_e32 v1, 16, v1
	v_and_or_b32 v7, v1, s14, v0
	v_and_or_b32 v0, v6, s15, v5
	v_cmp_ne_u32_e32 vcc, 0, v0
	v_cndmask_b32_e64 v0, 0, 1, vcc
	v_lshrrev_b32_e32 v1, 8, v6
	v_bfe_u32 v5, v6, 20, 11
	v_and_or_b32 v0, v1, s10, v0
	v_sub_u32_e32 v8, 0x3f1, v5
	v_or_b32_e32 v1, 0x1000, v0
	v_med3_i32 v8, v8, 0, 13
	v_lshrrev_b32_e32 v9, v8, v1
	v_lshlrev_b32_e32 v8, v8, v9
	v_cmp_ne_u32_e32 vcc, v8, v1
	v_cndmask_b32_e64 v1, 0, 1, vcc
	v_add_u32_e32 v5, 0xfffffc10, v5
	v_or_b32_e32 v1, v9, v1
	v_lshl_or_b32 v8, v5, 12, v0
	v_cmp_gt_i32_e32 vcc, 1, v5
	v_cndmask_b32_e32 v1, v8, v1, vcc
	v_and_b32_e32 v8, 7, v1
	v_cmp_lt_i32_e32 vcc, 5, v8
	v_cmp_eq_u32_e64 s[2:3], 3, v8
	v_lshrrev_b32_e32 v1, 2, v1
	s_or_b64 vcc, s[2:3], vcc
	v_addc_co_u32_e32 v1, vcc, 0, v1, vcc
	v_cmp_gt_i32_e32 vcc, 31, v5
	v_lshrrev_b32_e32 v9, 16, v4
	v_cndmask_b32_e32 v8, v15, v1, vcc
	v_mul_f16_sdwa v1, v112, v9 dst_sel:DWORD dst_unused:UNUSED_PAD src0_sel:WORD_1 src1_sel:DWORD
	v_fma_f16 v1, v112, v4, v1
	v_cvt_f32_f16_e32 v1, v1
	v_cmp_ne_u32_e32 vcc, 0, v0
	v_cndmask_b32_e64 v0, 0, 1, vcc
	v_lshl_or_b32 v10, v0, 9, v15
	v_cvt_f64_f32_e32 v[0:1], v1
	v_cmp_eq_u32_e32 vcc, s11, v5
	v_cndmask_b32_e32 v5, v8, v10, vcc
	v_lshrrev_b32_e32 v6, 16, v6
	v_mul_f64 v[0:1], v[0:1], s[12:13]
	v_add_co_u32_e32 v2, vcc, s6, v2
	v_and_or_b32 v5, v6, s14, v5
	v_and_b32_e32 v6, 0xffff, v7
	v_addc_co_u32_e32 v3, vcc, v3, v16, vcc
	v_lshl_or_b32 v5, v5, 16, v6
	v_and_or_b32 v0, v1, s15, v0
	v_cmp_ne_u32_e32 vcc, 0, v0
	global_store_dword v[2:3], v5, off
	v_cndmask_b32_e64 v0, 0, 1, vcc
	v_lshrrev_b32_e32 v5, 8, v1
	v_bfe_u32 v6, v1, 20, 11
	v_and_or_b32 v0, v5, s10, v0
	v_sub_u32_e32 v7, 0x3f1, v6
	v_or_b32_e32 v5, 0x1000, v0
	v_med3_i32 v7, v7, 0, 13
	v_lshrrev_b32_e32 v8, v7, v5
	v_lshlrev_b32_e32 v7, v7, v8
	v_mul_f16_sdwa v4, v112, v4 dst_sel:DWORD dst_unused:UNUSED_PAD src0_sel:WORD_1 src1_sel:DWORD
	v_cmp_ne_u32_e32 vcc, v7, v5
	v_fma_f16 v4, v112, v9, -v4
	v_cndmask_b32_e64 v5, 0, 1, vcc
	v_add_u32_e32 v6, 0xfffffc10, v6
	v_cvt_f32_f16_e32 v4, v4
	v_or_b32_e32 v5, v8, v5
	v_lshl_or_b32 v7, v6, 12, v0
	v_cmp_gt_i32_e32 vcc, 1, v6
	v_cndmask_b32_e32 v5, v7, v5, vcc
	v_and_b32_e32 v7, 7, v5
	v_cmp_lt_i32_e32 vcc, 5, v7
	v_cmp_eq_u32_e64 s[2:3], 3, v7
	v_lshrrev_b32_e32 v7, 2, v5
	v_cvt_f64_f32_e32 v[4:5], v4
	s_or_b64 vcc, s[2:3], vcc
	v_addc_co_u32_e32 v7, vcc, 0, v7, vcc
	v_mul_f64 v[4:5], v[4:5], s[12:13]
	v_cmp_gt_i32_e32 vcc, 31, v6
	v_cndmask_b32_e32 v7, v15, v7, vcc
	v_cmp_ne_u32_e32 vcc, 0, v0
	v_cndmask_b32_e64 v0, 0, 1, vcc
	v_lshl_or_b32 v0, v0, 9, v15
	v_cmp_eq_u32_e32 vcc, s11, v6
	v_cndmask_b32_e32 v0, v7, v0, vcc
	v_lshrrev_b32_e32 v1, 16, v1
	v_and_or_b32 v6, v1, s14, v0
	v_and_or_b32 v0, v5, s15, v4
	v_cmp_ne_u32_e32 vcc, 0, v0
	v_cndmask_b32_e64 v0, 0, 1, vcc
	v_lshrrev_b32_e32 v1, 8, v5
	v_bfe_u32 v4, v5, 20, 11
	v_and_or_b32 v0, v1, s10, v0
	v_sub_u32_e32 v7, 0x3f1, v4
	v_or_b32_e32 v1, 0x1000, v0
	v_med3_i32 v7, v7, 0, 13
	v_lshrrev_b32_e32 v8, v7, v1
	v_lshlrev_b32_e32 v7, v7, v8
	v_cmp_ne_u32_e32 vcc, v7, v1
	v_cndmask_b32_e64 v1, 0, 1, vcc
	v_add_u32_e32 v4, 0xfffffc10, v4
	v_or_b32_e32 v1, v8, v1
	v_lshl_or_b32 v7, v4, 12, v0
	v_cmp_gt_i32_e32 vcc, 1, v4
	v_cndmask_b32_e32 v1, v7, v1, vcc
	v_and_b32_e32 v7, 7, v1
	v_cmp_lt_i32_e32 vcc, 5, v7
	v_cmp_eq_u32_e64 s[2:3], 3, v7
	v_lshrrev_b32_e32 v1, 2, v1
	s_or_b64 vcc, s[2:3], vcc
	v_addc_co_u32_e32 v1, vcc, 0, v1, vcc
	v_cmp_gt_i32_e32 vcc, 31, v4
	v_lshrrev_b32_e32 v8, 16, v13
	v_cndmask_b32_e32 v7, v15, v1, vcc
	v_mul_f16_sdwa v1, v113, v8 dst_sel:DWORD dst_unused:UNUSED_PAD src0_sel:WORD_1 src1_sel:DWORD
	v_fma_f16 v1, v113, v13, v1
	v_cvt_f32_f16_e32 v1, v1
	v_cmp_ne_u32_e32 vcc, 0, v0
	v_cndmask_b32_e64 v0, 0, 1, vcc
	v_lshl_or_b32 v9, v0, 9, v15
	v_cvt_f64_f32_e32 v[0:1], v1
	v_cmp_eq_u32_e32 vcc, s11, v4
	v_cndmask_b32_e32 v4, v7, v9, vcc
	v_lshrrev_b32_e32 v5, 16, v5
	v_mul_f64 v[0:1], v[0:1], s[12:13]
	v_add_co_u32_e32 v2, vcc, s6, v2
	v_and_or_b32 v4, v5, s14, v4
	v_and_b32_e32 v5, 0xffff, v6
	v_addc_co_u32_e32 v3, vcc, v3, v16, vcc
	v_lshl_or_b32 v4, v4, 16, v5
	v_and_or_b32 v0, v1, s15, v0
	v_cmp_ne_u32_e32 vcc, 0, v0
	global_store_dword v[2:3], v4, off
	v_cndmask_b32_e64 v0, 0, 1, vcc
	v_lshrrev_b32_e32 v4, 8, v1
	v_bfe_u32 v5, v1, 20, 11
	v_and_or_b32 v0, v4, s10, v0
	v_sub_u32_e32 v6, 0x3f1, v5
	v_or_b32_e32 v4, 0x1000, v0
	v_med3_i32 v6, v6, 0, 13
	v_lshrrev_b32_e32 v7, v6, v4
	v_lshlrev_b32_e32 v6, v6, v7
	v_cmp_ne_u32_e32 vcc, v6, v4
	v_cndmask_b32_e64 v4, 0, 1, vcc
	v_or_b32_e32 v4, v7, v4
	v_mul_f16_sdwa v7, v113, v13 dst_sel:DWORD dst_unused:UNUSED_PAD src0_sel:WORD_1 src1_sel:DWORD
	v_fma_f16 v7, v113, v8, -v7
	v_add_u32_e32 v6, 0xfffffc10, v5
	v_cvt_f32_f16_e32 v7, v7
	v_lshl_or_b32 v5, v6, 12, v0
	v_cmp_gt_i32_e32 vcc, 1, v6
	v_cndmask_b32_e32 v4, v5, v4, vcc
	v_and_b32_e32 v5, 7, v4
	v_cmp_lt_i32_e32 vcc, 5, v5
	v_cmp_eq_u32_e64 s[2:3], 3, v5
	v_lshrrev_b32_e32 v8, 2, v4
	v_cvt_f64_f32_e32 v[4:5], v7
	s_or_b64 vcc, s[2:3], vcc
	v_addc_co_u32_e32 v7, vcc, 0, v8, vcc
	v_mul_f64 v[4:5], v[4:5], s[12:13]
	v_cmp_gt_i32_e32 vcc, 31, v6
	v_cndmask_b32_e32 v7, v15, v7, vcc
	v_cmp_ne_u32_e32 vcc, 0, v0
	v_cndmask_b32_e64 v0, 0, 1, vcc
	v_lshl_or_b32 v0, v0, 9, v15
	v_cmp_eq_u32_e32 vcc, s11, v6
	v_cndmask_b32_e32 v0, v7, v0, vcc
	v_lshrrev_b32_e32 v1, 16, v1
	v_and_or_b32 v0, v1, s14, v0
	v_and_or_b32 v1, v5, s15, v4
	v_cmp_ne_u32_e32 vcc, 0, v1
	v_cndmask_b32_e64 v1, 0, 1, vcc
	v_lshrrev_b32_e32 v4, 8, v5
	v_bfe_u32 v6, v5, 20, 11
	v_and_or_b32 v1, v4, s10, v1
	v_sub_u32_e32 v7, 0x3f1, v6
	v_or_b32_e32 v4, 0x1000, v1
	v_med3_i32 v7, v7, 0, 13
	v_lshrrev_b32_e32 v8, v7, v4
	v_lshlrev_b32_e32 v7, v7, v8
	v_cmp_ne_u32_e32 vcc, v7, v4
	v_cndmask_b32_e64 v4, 0, 1, vcc
	v_add_u32_e32 v6, 0xfffffc10, v6
	v_or_b32_e32 v4, v8, v4
	v_lshl_or_b32 v7, v6, 12, v1
	v_cmp_gt_i32_e32 vcc, 1, v6
	v_cndmask_b32_e32 v4, v7, v4, vcc
	v_and_b32_e32 v7, 7, v4
	v_cmp_lt_i32_e32 vcc, 5, v7
	v_cmp_eq_u32_e64 s[2:3], 3, v7
	v_lshrrev_b32_e32 v4, 2, v4
	s_or_b64 vcc, s[2:3], vcc
	v_addc_co_u32_e32 v4, vcc, 0, v4, vcc
	v_cmp_gt_i32_e32 vcc, 31, v6
	v_cndmask_b32_e32 v4, v15, v4, vcc
	v_cmp_ne_u32_e32 vcc, 0, v1
	v_cndmask_b32_e64 v1, 0, 1, vcc
	v_lshl_or_b32 v1, v1, 9, v15
	v_cmp_eq_u32_e32 vcc, s11, v6
	v_cndmask_b32_e32 v1, v4, v1, vcc
	v_lshrrev_b32_e32 v4, 16, v5
	v_and_or_b32 v1, v4, s14, v1
	v_and_b32_e32 v0, 0xffff, v0
	v_lshl_or_b32 v4, v1, 16, v0
	v_add_co_u32_e32 v0, vcc, s6, v2
	v_addc_co_u32_e32 v1, vcc, v3, v16, vcc
	global_store_dword v[0:1], v4, off
	s_and_b64 exec, exec, s[0:1]
	s_cbranch_execz .LBB0_15
; %bb.14:
	global_load_dword v4, v[68:69], off offset:720
	v_add_u32_e32 v2, 0x280, v111
	ds_read2_b32 v[2:3], v2 offset0:20 offset1:236
	v_add_co_u32_e32 v0, vcc, s4, v0
	s_waitcnt lgkmcnt(0)
	v_lshrrev_b32_e32 v5, 16, v2
	s_waitcnt vmcnt(0)
	v_mul_f16_sdwa v6, v5, v4 dst_sel:DWORD dst_unused:UNUSED_PAD src0_sel:DWORD src1_sel:WORD_1
	v_fma_f16 v6, v2, v4, v6
	v_mul_f16_sdwa v2, v2, v4 dst_sel:DWORD dst_unused:UNUSED_PAD src0_sel:DWORD src1_sel:WORD_1
	v_cvt_f32_f16_e32 v6, v6
	v_fma_f16 v2, v4, v5, -v2
	v_cvt_f32_f16_e32 v2, v2
	v_cvt_f64_f32_e32 v[4:5], v6
	v_cvt_f64_f32_e32 v[6:7], v2
	v_mov_b32_e32 v2, s5
	v_mul_f64 v[4:5], v[4:5], s[12:13]
	v_addc_co_u32_e32 v1, vcc, v1, v2, vcc
	v_mul_f64 v[6:7], v[6:7], s[12:13]
	v_and_or_b32 v2, v5, s15, v4
	v_cmp_ne_u32_e32 vcc, 0, v2
	v_lshrrev_b32_e32 v4, 8, v5
	v_and_or_b32 v6, v7, s15, v6
	v_bfe_u32 v8, v5, 20, 11
	v_cndmask_b32_e64 v2, 0, 1, vcc
	v_cmp_ne_u32_e32 vcc, 0, v6
	v_lshrrev_b32_e32 v9, 8, v7
	v_bfe_u32 v10, v7, 20, 11
	v_sub_u32_e32 v11, 0x3f1, v8
	v_cndmask_b32_e64 v6, 0, 1, vcc
	v_and_or_b32 v2, v4, s10, v2
	v_sub_u32_e32 v12, 0x3f1, v10
	v_med3_i32 v4, v11, 0, 13
	v_and_or_b32 v6, v9, s10, v6
	v_or_b32_e32 v11, 0x1000, v2
	v_add_u32_e32 v8, 0xfffffc10, v8
	v_med3_i32 v9, v12, 0, 13
	v_cmp_ne_u32_e32 vcc, 0, v2
	v_or_b32_e32 v13, 0x1000, v6
	v_lshrrev_b32_e32 v16, v4, v11
	v_add_u32_e32 v10, 0xfffffc10, v10
	v_lshl_or_b32 v12, v8, 12, v2
	v_cndmask_b32_e64 v2, 0, 1, vcc
	v_cmp_ne_u32_e32 vcc, 0, v6
	v_lshrrev_b32_e32 v17, v9, v13
	v_lshlrev_b32_e32 v4, v4, v16
	v_lshl_or_b32 v14, v10, 12, v6
	v_cndmask_b32_e64 v6, 0, 1, vcc
	v_lshlrev_b32_e32 v9, v9, v17
	v_cmp_ne_u32_e32 vcc, v4, v11
	v_cndmask_b32_e64 v4, 0, 1, vcc
	v_cmp_ne_u32_e32 vcc, v9, v13
	v_cndmask_b32_e64 v9, 0, 1, vcc
	v_or_b32_e32 v4, v16, v4
	v_cmp_gt_i32_e32 vcc, 1, v8
	v_cndmask_b32_e32 v4, v12, v4, vcc
	v_or_b32_e32 v9, v17, v9
	v_cmp_gt_i32_e32 vcc, 1, v10
	v_and_b32_e32 v11, 7, v4
	v_cndmask_b32_e32 v9, v14, v9, vcc
	v_cmp_lt_i32_e32 vcc, 5, v11
	v_cmp_eq_u32_e64 s[0:1], 3, v11
	v_lshrrev_b32_e32 v4, 2, v4
	v_and_b32_e32 v12, 7, v9
	s_or_b64 vcc, s[0:1], vcc
	v_cmp_lt_i32_e64 s[2:3], 5, v12
	v_cmp_eq_u32_e64 s[4:5], 3, v12
	v_addc_co_u32_e32 v4, vcc, 0, v4, vcc
	v_lshrrev_b32_e32 v9, 2, v9
	s_or_b64 vcc, s[4:5], s[2:3]
	v_addc_co_u32_e32 v9, vcc, 0, v9, vcc
	v_cmp_gt_i32_e32 vcc, 31, v8
	v_cndmask_b32_e32 v4, v15, v4, vcc
	v_cmp_gt_i32_e32 vcc, 31, v10
	v_lshl_or_b32 v2, v2, 9, v15
	v_cndmask_b32_e32 v9, v15, v9, vcc
	v_cmp_eq_u32_e32 vcc, s11, v8
	v_lshrrev_b32_e32 v5, 16, v5
	v_lshl_or_b32 v6, v6, 9, v15
	v_cndmask_b32_e32 v2, v4, v2, vcc
	v_cmp_eq_u32_e32 vcc, s11, v10
	v_lshrrev_b32_e32 v7, 16, v7
	v_cndmask_b32_e32 v4, v9, v6, vcc
	v_and_or_b32 v2, v5, s14, v2
	v_and_or_b32 v4, v7, s14, v4
	v_and_b32_e32 v2, 0xffff, v2
	v_lshl_or_b32 v2, v4, 16, v2
	global_store_dword v[0:1], v2, off
	global_load_dword v2, v[68:69], off offset:1584
	v_lshrrev_b32_e32 v4, 16, v3
	v_add_co_u32_e32 v0, vcc, s6, v0
	s_waitcnt vmcnt(0)
	v_mul_f16_sdwa v5, v4, v2 dst_sel:DWORD dst_unused:UNUSED_PAD src0_sel:DWORD src1_sel:WORD_1
	v_fma_f16 v5, v3, v2, v5
	v_mul_f16_sdwa v3, v3, v2 dst_sel:DWORD dst_unused:UNUSED_PAD src0_sel:DWORD src1_sel:WORD_1
	v_cvt_f32_f16_e32 v5, v5
	v_fma_f16 v2, v2, v4, -v3
	v_cvt_f32_f16_e32 v4, v2
	v_cvt_f64_f32_e32 v[2:3], v5
	v_cvt_f64_f32_e32 v[4:5], v4
	v_mul_f64 v[6:7], v[2:3], s[12:13]
	v_mov_b32_e32 v2, s7
	v_mul_f64 v[3:4], v[4:5], s[12:13]
	v_addc_co_u32_e32 v1, vcc, v1, v2, vcc
	v_and_or_b32 v5, v7, s15, v6
	v_cmp_ne_u32_e32 vcc, 0, v5
	v_and_or_b32 v3, v4, s15, v3
	v_lshrrev_b32_e32 v6, 8, v7
	v_bfe_u32 v8, v7, 20, 11
	v_cndmask_b32_e64 v5, 0, 1, vcc
	v_cmp_ne_u32_e32 vcc, 0, v3
	v_lshrrev_b32_e32 v9, 8, v4
	v_bfe_u32 v10, v4, 20, 11
	v_sub_u32_e32 v11, 0x3f1, v8
	v_cndmask_b32_e64 v3, 0, 1, vcc
	v_and_or_b32 v5, v6, s10, v5
	v_sub_u32_e32 v12, 0x3f1, v10
	v_med3_i32 v6, v11, 0, 13
	v_and_or_b32 v3, v9, s10, v3
	v_or_b32_e32 v11, 0x1000, v5
	v_add_u32_e32 v8, 0xfffffc10, v8
	v_med3_i32 v9, v12, 0, 13
	v_cmp_ne_u32_e32 vcc, 0, v5
	v_or_b32_e32 v13, 0x1000, v3
	v_lshrrev_b32_e32 v16, v6, v11
	v_add_u32_e32 v10, 0xfffffc10, v10
	v_lshl_or_b32 v12, v8, 12, v5
	v_cndmask_b32_e64 v5, 0, 1, vcc
	v_cmp_ne_u32_e32 vcc, 0, v3
	v_lshrrev_b32_e32 v17, v9, v13
	v_lshlrev_b32_e32 v6, v6, v16
	v_lshl_or_b32 v14, v10, 12, v3
	v_cndmask_b32_e64 v3, 0, 1, vcc
	v_lshlrev_b32_e32 v9, v9, v17
	v_cmp_ne_u32_e32 vcc, v6, v11
	v_cndmask_b32_e64 v6, 0, 1, vcc
	v_cmp_ne_u32_e32 vcc, v9, v13
	v_cndmask_b32_e64 v9, 0, 1, vcc
	v_or_b32_e32 v6, v16, v6
	v_cmp_gt_i32_e32 vcc, 1, v8
	v_cndmask_b32_e32 v6, v12, v6, vcc
	v_or_b32_e32 v9, v17, v9
	v_cmp_gt_i32_e32 vcc, 1, v10
	v_and_b32_e32 v11, 7, v6
	v_cndmask_b32_e32 v9, v14, v9, vcc
	v_cmp_lt_i32_e32 vcc, 5, v11
	v_cmp_eq_u32_e64 s[0:1], 3, v11
	v_lshrrev_b32_e32 v6, 2, v6
	v_and_b32_e32 v12, 7, v9
	s_or_b64 vcc, s[0:1], vcc
	v_cmp_lt_i32_e64 s[2:3], 5, v12
	v_cmp_eq_u32_e64 s[4:5], 3, v12
	v_addc_co_u32_e32 v6, vcc, 0, v6, vcc
	v_lshrrev_b32_e32 v9, 2, v9
	s_or_b64 vcc, s[4:5], s[2:3]
	v_addc_co_u32_e32 v9, vcc, 0, v9, vcc
	v_cmp_gt_i32_e32 vcc, 31, v8
	v_cndmask_b32_e32 v6, v15, v6, vcc
	v_cmp_gt_i32_e32 vcc, 31, v10
	v_lshl_or_b32 v5, v5, 9, v15
	v_cndmask_b32_e32 v9, v15, v9, vcc
	v_cmp_eq_u32_e32 vcc, s11, v8
	v_lshrrev_b32_e32 v7, 16, v7
	v_lshl_or_b32 v3, v3, 9, v15
	v_cndmask_b32_e32 v5, v6, v5, vcc
	v_cmp_eq_u32_e32 vcc, s11, v10
	v_lshrrev_b32_e32 v4, 16, v4
	v_cndmask_b32_e32 v3, v9, v3, vcc
	v_and_or_b32 v5, v7, s14, v5
	v_and_or_b32 v3, v4, s14, v3
	v_and_b32_e32 v4, 0xffff, v5
	v_lshl_or_b32 v3, v3, 16, v4
	global_store_dword v[0:1], v3, off
	global_load_dword v5, v[68:69], off offset:2448
	v_add_u32_e32 v3, 0x900, v111
	ds_read2_b32 v[3:4], v3 offset0:36 offset1:252
	v_add_co_u32_e32 v9, vcc, s6, v0
	v_addc_co_u32_e32 v10, vcc, v1, v2, vcc
	s_waitcnt lgkmcnt(0)
	v_lshrrev_b32_e32 v6, 16, v3
	s_waitcnt vmcnt(0)
	v_mul_f16_sdwa v7, v6, v5 dst_sel:DWORD dst_unused:UNUSED_PAD src0_sel:DWORD src1_sel:WORD_1
	v_fma_f16 v7, v3, v5, v7
	v_mul_f16_sdwa v3, v3, v5 dst_sel:DWORD dst_unused:UNUSED_PAD src0_sel:DWORD src1_sel:WORD_1
	v_cvt_f32_f16_e32 v7, v7
	v_fma_f16 v3, v5, v6, -v3
	v_cvt_f32_f16_e32 v3, v3
	v_cvt_f64_f32_e32 v[5:6], v7
	v_cvt_f64_f32_e32 v[7:8], v3
	v_mul_f64 v[5:6], v[5:6], s[12:13]
	v_mul_f64 v[7:8], v[7:8], s[12:13]
	v_and_or_b32 v0, v6, s15, v5
	v_lshrrev_b32_e32 v1, 8, v6
	v_bfe_u32 v3, v6, 20, 11
	v_lshrrev_b32_e32 v5, 16, v6
	v_and_or_b32 v6, v8, s15, v7
	v_cmp_ne_u32_e32 vcc, 0, v0
	v_cndmask_b32_e64 v0, 0, 1, vcc
	v_cmp_ne_u32_e32 vcc, 0, v6
	v_lshrrev_b32_e32 v7, 8, v8
	v_bfe_u32 v11, v8, 20, 11
	v_sub_u32_e32 v12, 0x3f1, v3
	v_cndmask_b32_e64 v6, 0, 1, vcc
	v_and_or_b32 v0, v1, s10, v0
	v_sub_u32_e32 v13, 0x3f1, v11
	v_med3_i32 v1, v12, 0, 13
	v_and_or_b32 v6, v7, s10, v6
	v_or_b32_e32 v12, 0x1000, v0
	v_add_u32_e32 v3, 0xfffffc10, v3
	v_med3_i32 v7, v13, 0, 13
	v_cmp_ne_u32_e32 vcc, 0, v0
	v_or_b32_e32 v14, 0x1000, v6
	v_lshrrev_b32_e32 v17, v1, v12
	v_add_u32_e32 v11, 0xfffffc10, v11
	v_lshl_or_b32 v13, v3, 12, v0
	v_cndmask_b32_e64 v0, 0, 1, vcc
	v_cmp_ne_u32_e32 vcc, 0, v6
	v_lshrrev_b32_e32 v18, v7, v14
	v_lshlrev_b32_e32 v1, v1, v17
	v_lshl_or_b32 v16, v11, 12, v6
	v_cndmask_b32_e64 v6, 0, 1, vcc
	v_lshlrev_b32_e32 v7, v7, v18
	v_cmp_ne_u32_e32 vcc, v1, v12
	v_cndmask_b32_e64 v1, 0, 1, vcc
	v_cmp_ne_u32_e32 vcc, v7, v14
	v_cndmask_b32_e64 v7, 0, 1, vcc
	v_or_b32_e32 v1, v17, v1
	v_cmp_gt_i32_e32 vcc, 1, v3
	v_cndmask_b32_e32 v1, v13, v1, vcc
	v_or_b32_e32 v7, v18, v7
	v_cmp_gt_i32_e32 vcc, 1, v11
	v_and_b32_e32 v12, 7, v1
	v_cndmask_b32_e32 v7, v16, v7, vcc
	v_cmp_lt_i32_e32 vcc, 5, v12
	v_cmp_eq_u32_e64 s[0:1], 3, v12
	v_lshrrev_b32_e32 v1, 2, v1
	v_and_b32_e32 v13, 7, v7
	s_or_b64 vcc, s[0:1], vcc
	v_cmp_lt_i32_e64 s[2:3], 5, v13
	v_cmp_eq_u32_e64 s[4:5], 3, v13
	v_addc_co_u32_e32 v1, vcc, 0, v1, vcc
	v_lshrrev_b32_e32 v7, 2, v7
	s_or_b64 vcc, s[4:5], s[2:3]
	v_addc_co_u32_e32 v7, vcc, 0, v7, vcc
	v_cmp_gt_i32_e32 vcc, 31, v3
	v_cndmask_b32_e32 v1, v15, v1, vcc
	v_cmp_gt_i32_e32 vcc, 31, v11
	v_lshl_or_b32 v0, v0, 9, v15
	v_cndmask_b32_e32 v7, v15, v7, vcc
	v_cmp_eq_u32_e32 vcc, s11, v3
	v_lshl_or_b32 v6, v6, 9, v15
	v_cndmask_b32_e32 v0, v1, v0, vcc
	v_cmp_eq_u32_e32 vcc, s11, v11
	v_lshrrev_b32_e32 v8, 16, v8
	v_cndmask_b32_e32 v1, v7, v6, vcc
	v_and_or_b32 v0, v5, s14, v0
	v_and_or_b32 v1, v8, s14, v1
	v_and_b32_e32 v0, 0xffff, v0
	v_lshl_or_b32 v0, v1, 16, v0
	global_store_dword v[9:10], v0, off
	global_load_dword v0, v[68:69], off offset:3312
	v_lshrrev_b32_e32 v1, 16, v4
	s_waitcnt vmcnt(0)
	v_mul_f16_sdwa v3, v1, v0 dst_sel:DWORD dst_unused:UNUSED_PAD src0_sel:DWORD src1_sel:WORD_1
	v_fma_f16 v3, v4, v0, v3
	v_mul_f16_sdwa v4, v4, v0 dst_sel:DWORD dst_unused:UNUSED_PAD src0_sel:DWORD src1_sel:WORD_1
	v_cvt_f32_f16_e32 v3, v3
	v_fma_f16 v0, v0, v1, -v4
	v_cvt_f32_f16_e32 v4, v0
	v_cvt_f64_f32_e32 v[0:1], v3
	v_cvt_f64_f32_e32 v[3:4], v4
	v_mul_f64 v[5:6], v[0:1], s[12:13]
	v_add_co_u32_e32 v0, vcc, s16, v68
	v_mul_f64 v[3:4], v[3:4], s[12:13]
	v_addc_co_u32_e32 v1, vcc, 0, v69, vcc
	v_add_co_u32_e32 v7, vcc, s6, v9
	v_addc_co_u32_e32 v8, vcc, v10, v2, vcc
	v_and_or_b32 v5, v6, s15, v5
	v_and_or_b32 v3, v4, s15, v3
	v_cmp_ne_u32_e32 vcc, 0, v5
	v_lshrrev_b32_e32 v9, 8, v6
	v_bfe_u32 v10, v6, 20, 11
	v_cndmask_b32_e64 v5, 0, 1, vcc
	v_cmp_ne_u32_e32 vcc, 0, v3
	v_lshrrev_b32_e32 v11, 8, v4
	v_bfe_u32 v12, v4, 20, 11
	v_sub_u32_e32 v13, 0x3f1, v10
	v_cndmask_b32_e64 v3, 0, 1, vcc
	v_and_or_b32 v5, v9, s10, v5
	v_sub_u32_e32 v14, 0x3f1, v12
	v_med3_i32 v9, v13, 0, 13
	v_and_or_b32 v3, v11, s10, v3
	v_or_b32_e32 v13, 0x1000, v5
	v_add_u32_e32 v10, 0xfffffc10, v10
	v_med3_i32 v11, v14, 0, 13
	v_cmp_ne_u32_e32 vcc, 0, v5
	v_or_b32_e32 v16, 0x1000, v3
	v_lshrrev_b32_e32 v18, v9, v13
	v_add_u32_e32 v12, 0xfffffc10, v12
	v_lshl_or_b32 v14, v10, 12, v5
	v_cndmask_b32_e64 v5, 0, 1, vcc
	v_cmp_ne_u32_e32 vcc, 0, v3
	v_lshrrev_b32_e32 v19, v11, v16
	v_lshlrev_b32_e32 v9, v9, v18
	v_lshl_or_b32 v17, v12, 12, v3
	v_cndmask_b32_e64 v3, 0, 1, vcc
	v_lshlrev_b32_e32 v11, v11, v19
	v_cmp_ne_u32_e32 vcc, v9, v13
	v_cndmask_b32_e64 v9, 0, 1, vcc
	v_cmp_ne_u32_e32 vcc, v11, v16
	v_cndmask_b32_e64 v11, 0, 1, vcc
	v_or_b32_e32 v9, v18, v9
	v_cmp_gt_i32_e32 vcc, 1, v10
	v_cndmask_b32_e32 v9, v14, v9, vcc
	v_or_b32_e32 v11, v19, v11
	v_cmp_gt_i32_e32 vcc, 1, v12
	v_and_b32_e32 v13, 7, v9
	v_cndmask_b32_e32 v11, v17, v11, vcc
	v_cmp_lt_i32_e32 vcc, 5, v13
	v_cmp_eq_u32_e64 s[0:1], 3, v13
	v_lshrrev_b32_e32 v9, 2, v9
	v_and_b32_e32 v14, 7, v11
	s_or_b64 vcc, s[0:1], vcc
	v_cmp_lt_i32_e64 s[2:3], 5, v14
	v_cmp_eq_u32_e64 s[4:5], 3, v14
	v_addc_co_u32_e32 v9, vcc, 0, v9, vcc
	v_lshrrev_b32_e32 v11, 2, v11
	s_or_b64 vcc, s[4:5], s[2:3]
	v_addc_co_u32_e32 v11, vcc, 0, v11, vcc
	v_cmp_gt_i32_e32 vcc, 31, v10
	v_cndmask_b32_e32 v9, v15, v9, vcc
	v_cmp_gt_i32_e32 vcc, 31, v12
	v_lshl_or_b32 v5, v5, 9, v15
	v_cndmask_b32_e32 v11, v15, v11, vcc
	v_cmp_eq_u32_e32 vcc, s11, v10
	v_lshrrev_b32_e32 v6, 16, v6
	v_lshl_or_b32 v3, v3, 9, v15
	v_cndmask_b32_e32 v5, v9, v5, vcc
	v_cmp_eq_u32_e32 vcc, s11, v12
	v_lshrrev_b32_e32 v4, 16, v4
	v_cndmask_b32_e32 v3, v11, v3, vcc
	v_and_or_b32 v5, v6, s14, v5
	v_and_or_b32 v3, v4, s14, v3
	v_and_b32_e32 v4, 0xffff, v5
	v_lshl_or_b32 v3, v3, 16, v4
	global_store_dword v[7:8], v3, off
	global_load_dword v5, v[0:1], off offset:80
	ds_read2_b32 v[3:4], v71 offset0:20 offset1:236
	v_add_co_u32_e32 v7, vcc, s6, v7
	v_addc_co_u32_e32 v8, vcc, v8, v2, vcc
	s_waitcnt lgkmcnt(0)
	v_lshrrev_b32_e32 v6, 16, v3
	s_waitcnt vmcnt(0)
	v_mul_f16_sdwa v9, v6, v5 dst_sel:DWORD dst_unused:UNUSED_PAD src0_sel:DWORD src1_sel:WORD_1
	v_fma_f16 v9, v3, v5, v9
	v_mul_f16_sdwa v3, v3, v5 dst_sel:DWORD dst_unused:UNUSED_PAD src0_sel:DWORD src1_sel:WORD_1
	v_cvt_f32_f16_e32 v9, v9
	v_fma_f16 v3, v5, v6, -v3
	v_cvt_f32_f16_e32 v3, v3
	v_cvt_f64_f32_e32 v[5:6], v9
	v_cvt_f64_f32_e32 v[9:10], v3
	v_mul_f64 v[5:6], v[5:6], s[12:13]
	v_mul_f64 v[9:10], v[9:10], s[12:13]
	v_and_or_b32 v3, v6, s15, v5
	v_cmp_ne_u32_e32 vcc, 0, v3
	v_and_or_b32 v9, v10, s15, v9
	v_lshrrev_b32_e32 v5, 8, v6
	v_bfe_u32 v11, v6, 20, 11
	v_cndmask_b32_e64 v3, 0, 1, vcc
	v_cmp_ne_u32_e32 vcc, 0, v9
	v_lshrrev_b32_e32 v12, 8, v10
	v_bfe_u32 v13, v10, 20, 11
	v_sub_u32_e32 v14, 0x3f1, v11
	v_cndmask_b32_e64 v9, 0, 1, vcc
	v_and_or_b32 v3, v5, s10, v3
	v_sub_u32_e32 v16, 0x3f1, v13
	v_med3_i32 v5, v14, 0, 13
	v_and_or_b32 v9, v12, s10, v9
	v_or_b32_e32 v14, 0x1000, v3
	v_add_u32_e32 v11, 0xfffffc10, v11
	v_med3_i32 v12, v16, 0, 13
	v_cmp_ne_u32_e32 vcc, 0, v3
	v_or_b32_e32 v17, 0x1000, v9
	v_lshrrev_b32_e32 v19, v5, v14
	v_add_u32_e32 v13, 0xfffffc10, v13
	v_lshl_or_b32 v16, v11, 12, v3
	v_cndmask_b32_e64 v3, 0, 1, vcc
	v_cmp_ne_u32_e32 vcc, 0, v9
	v_lshrrev_b32_e32 v20, v12, v17
	v_lshlrev_b32_e32 v5, v5, v19
	v_lshl_or_b32 v18, v13, 12, v9
	v_cndmask_b32_e64 v9, 0, 1, vcc
	v_lshlrev_b32_e32 v12, v12, v20
	v_cmp_ne_u32_e32 vcc, v5, v14
	v_cndmask_b32_e64 v5, 0, 1, vcc
	v_cmp_ne_u32_e32 vcc, v12, v17
	v_cndmask_b32_e64 v12, 0, 1, vcc
	v_or_b32_e32 v5, v19, v5
	v_cmp_gt_i32_e32 vcc, 1, v11
	v_cndmask_b32_e32 v5, v16, v5, vcc
	v_or_b32_e32 v12, v20, v12
	v_cmp_gt_i32_e32 vcc, 1, v13
	v_and_b32_e32 v14, 7, v5
	v_cndmask_b32_e32 v12, v18, v12, vcc
	v_cmp_lt_i32_e32 vcc, 5, v14
	v_cmp_eq_u32_e64 s[0:1], 3, v14
	v_lshrrev_b32_e32 v5, 2, v5
	v_and_b32_e32 v16, 7, v12
	s_or_b64 vcc, s[0:1], vcc
	v_cmp_lt_i32_e64 s[2:3], 5, v16
	v_cmp_eq_u32_e64 s[4:5], 3, v16
	v_addc_co_u32_e32 v5, vcc, 0, v5, vcc
	v_lshrrev_b32_e32 v12, 2, v12
	s_or_b64 vcc, s[4:5], s[2:3]
	v_addc_co_u32_e32 v12, vcc, 0, v12, vcc
	v_cmp_gt_i32_e32 vcc, 31, v11
	v_cndmask_b32_e32 v5, v15, v5, vcc
	v_cmp_gt_i32_e32 vcc, 31, v13
	v_lshl_or_b32 v3, v3, 9, v15
	v_cndmask_b32_e32 v12, v15, v12, vcc
	v_cmp_eq_u32_e32 vcc, s11, v11
	v_lshrrev_b32_e32 v6, 16, v6
	v_lshl_or_b32 v9, v9, 9, v15
	v_cndmask_b32_e32 v3, v5, v3, vcc
	v_cmp_eq_u32_e32 vcc, s11, v13
	v_lshrrev_b32_e32 v10, 16, v10
	v_cndmask_b32_e32 v5, v12, v9, vcc
	v_and_or_b32 v3, v6, s14, v3
	v_and_or_b32 v5, v10, s14, v5
	v_and_b32_e32 v3, 0xffff, v3
	v_lshl_or_b32 v3, v5, 16, v3
	global_store_dword v[7:8], v3, off
	global_load_dword v3, v[0:1], off offset:944
	v_lshrrev_b32_e32 v5, 16, v4
	v_add_co_u32_e32 v7, vcc, s6, v7
	v_addc_co_u32_e32 v8, vcc, v8, v2, vcc
	s_waitcnt vmcnt(0)
	v_mul_f16_sdwa v6, v5, v3 dst_sel:DWORD dst_unused:UNUSED_PAD src0_sel:DWORD src1_sel:WORD_1
	v_fma_f16 v6, v4, v3, v6
	v_mul_f16_sdwa v4, v4, v3 dst_sel:DWORD dst_unused:UNUSED_PAD src0_sel:DWORD src1_sel:WORD_1
	v_cvt_f32_f16_e32 v6, v6
	v_fma_f16 v3, v3, v5, -v4
	v_cvt_f32_f16_e32 v5, v3
	v_cvt_f64_f32_e32 v[3:4], v6
	v_cvt_f64_f32_e32 v[5:6], v5
	v_mul_f64 v[3:4], v[3:4], s[12:13]
	v_mul_f64 v[5:6], v[5:6], s[12:13]
	v_and_or_b32 v3, v4, s15, v3
	v_cmp_ne_u32_e32 vcc, 0, v3
	v_and_or_b32 v5, v6, s15, v5
	v_lshrrev_b32_e32 v9, 8, v4
	v_bfe_u32 v10, v4, 20, 11
	v_cndmask_b32_e64 v3, 0, 1, vcc
	v_cmp_ne_u32_e32 vcc, 0, v5
	v_lshrrev_b32_e32 v11, 8, v6
	v_bfe_u32 v12, v6, 20, 11
	v_sub_u32_e32 v13, 0x3f1, v10
	v_cndmask_b32_e64 v5, 0, 1, vcc
	v_and_or_b32 v3, v9, s10, v3
	v_sub_u32_e32 v14, 0x3f1, v12
	v_med3_i32 v9, v13, 0, 13
	v_and_or_b32 v5, v11, s10, v5
	v_or_b32_e32 v13, 0x1000, v3
	v_add_u32_e32 v10, 0xfffffc10, v10
	v_med3_i32 v11, v14, 0, 13
	v_cmp_ne_u32_e32 vcc, 0, v3
	v_or_b32_e32 v16, 0x1000, v5
	v_lshrrev_b32_e32 v18, v9, v13
	v_add_u32_e32 v12, 0xfffffc10, v12
	v_lshl_or_b32 v14, v10, 12, v3
	v_cndmask_b32_e64 v3, 0, 1, vcc
	v_cmp_ne_u32_e32 vcc, 0, v5
	v_lshrrev_b32_e32 v19, v11, v16
	v_lshlrev_b32_e32 v9, v9, v18
	v_lshl_or_b32 v17, v12, 12, v5
	v_cndmask_b32_e64 v5, 0, 1, vcc
	v_lshlrev_b32_e32 v11, v11, v19
	v_cmp_ne_u32_e32 vcc, v9, v13
	v_cndmask_b32_e64 v9, 0, 1, vcc
	v_cmp_ne_u32_e32 vcc, v11, v16
	v_cndmask_b32_e64 v11, 0, 1, vcc
	v_or_b32_e32 v9, v18, v9
	v_cmp_gt_i32_e32 vcc, 1, v10
	v_cndmask_b32_e32 v9, v14, v9, vcc
	v_or_b32_e32 v11, v19, v11
	v_cmp_gt_i32_e32 vcc, 1, v12
	v_and_b32_e32 v13, 7, v9
	v_cndmask_b32_e32 v11, v17, v11, vcc
	v_cmp_lt_i32_e32 vcc, 5, v13
	v_cmp_eq_u32_e64 s[0:1], 3, v13
	v_lshrrev_b32_e32 v9, 2, v9
	v_and_b32_e32 v14, 7, v11
	s_or_b64 vcc, s[0:1], vcc
	v_cmp_lt_i32_e64 s[2:3], 5, v14
	v_cmp_eq_u32_e64 s[4:5], 3, v14
	v_addc_co_u32_e32 v9, vcc, 0, v9, vcc
	v_lshrrev_b32_e32 v11, 2, v11
	s_or_b64 vcc, s[4:5], s[2:3]
	v_addc_co_u32_e32 v11, vcc, 0, v11, vcc
	v_cmp_gt_i32_e32 vcc, 31, v10
	v_cndmask_b32_e32 v9, v15, v9, vcc
	v_cmp_gt_i32_e32 vcc, 31, v12
	v_lshl_or_b32 v3, v3, 9, v15
	v_cndmask_b32_e32 v11, v15, v11, vcc
	v_cmp_eq_u32_e32 vcc, s11, v10
	v_lshrrev_b32_e32 v4, 16, v4
	v_lshl_or_b32 v5, v5, 9, v15
	v_cndmask_b32_e32 v3, v9, v3, vcc
	v_cmp_eq_u32_e32 vcc, s11, v12
	v_lshrrev_b32_e32 v6, 16, v6
	v_cndmask_b32_e32 v5, v11, v5, vcc
	v_and_or_b32 v3, v4, s14, v3
	v_and_or_b32 v4, v6, s14, v5
	v_and_b32_e32 v3, 0xffff, v3
	v_lshl_or_b32 v3, v4, 16, v3
	global_store_dword v[7:8], v3, off
	global_load_dword v5, v[0:1], off offset:1808
	v_add_u32_e32 v3, 0x1700, v111
	ds_read2_b32 v[3:4], v3 offset0:4 offset1:220
	v_add_co_u32_e32 v7, vcc, s6, v7
	v_addc_co_u32_e32 v8, vcc, v8, v2, vcc
	s_waitcnt lgkmcnt(0)
	v_lshrrev_b32_e32 v6, 16, v3
	s_waitcnt vmcnt(0)
	v_mul_f16_sdwa v9, v6, v5 dst_sel:DWORD dst_unused:UNUSED_PAD src0_sel:DWORD src1_sel:WORD_1
	v_fma_f16 v9, v3, v5, v9
	v_mul_f16_sdwa v3, v3, v5 dst_sel:DWORD dst_unused:UNUSED_PAD src0_sel:DWORD src1_sel:WORD_1
	v_cvt_f32_f16_e32 v9, v9
	v_fma_f16 v3, v5, v6, -v3
	v_cvt_f32_f16_e32 v3, v3
	v_cvt_f64_f32_e32 v[5:6], v9
	v_cvt_f64_f32_e32 v[9:10], v3
	v_mul_f64 v[5:6], v[5:6], s[12:13]
	v_mul_f64 v[9:10], v[9:10], s[12:13]
	v_and_or_b32 v3, v6, s15, v5
	v_cmp_ne_u32_e32 vcc, 0, v3
	v_and_or_b32 v9, v10, s15, v9
	v_lshrrev_b32_e32 v5, 8, v6
	v_bfe_u32 v11, v6, 20, 11
	v_cndmask_b32_e64 v3, 0, 1, vcc
	v_cmp_ne_u32_e32 vcc, 0, v9
	v_lshrrev_b32_e32 v12, 8, v10
	v_bfe_u32 v13, v10, 20, 11
	v_sub_u32_e32 v14, 0x3f1, v11
	v_cndmask_b32_e64 v9, 0, 1, vcc
	v_and_or_b32 v3, v5, s10, v3
	v_sub_u32_e32 v16, 0x3f1, v13
	v_med3_i32 v5, v14, 0, 13
	v_and_or_b32 v9, v12, s10, v9
	v_or_b32_e32 v14, 0x1000, v3
	v_add_u32_e32 v11, 0xfffffc10, v11
	v_med3_i32 v12, v16, 0, 13
	v_cmp_ne_u32_e32 vcc, 0, v3
	v_or_b32_e32 v17, 0x1000, v9
	v_lshrrev_b32_e32 v19, v5, v14
	v_add_u32_e32 v13, 0xfffffc10, v13
	v_lshl_or_b32 v16, v11, 12, v3
	v_cndmask_b32_e64 v3, 0, 1, vcc
	v_cmp_ne_u32_e32 vcc, 0, v9
	v_lshrrev_b32_e32 v20, v12, v17
	v_lshlrev_b32_e32 v5, v5, v19
	v_lshl_or_b32 v18, v13, 12, v9
	v_cndmask_b32_e64 v9, 0, 1, vcc
	v_lshlrev_b32_e32 v12, v12, v20
	v_cmp_ne_u32_e32 vcc, v5, v14
	v_cndmask_b32_e64 v5, 0, 1, vcc
	v_cmp_ne_u32_e32 vcc, v12, v17
	v_cndmask_b32_e64 v12, 0, 1, vcc
	v_or_b32_e32 v5, v19, v5
	v_cmp_gt_i32_e32 vcc, 1, v11
	v_cndmask_b32_e32 v5, v16, v5, vcc
	v_or_b32_e32 v12, v20, v12
	v_cmp_gt_i32_e32 vcc, 1, v13
	v_and_b32_e32 v14, 7, v5
	v_cndmask_b32_e32 v12, v18, v12, vcc
	v_cmp_lt_i32_e32 vcc, 5, v14
	v_cmp_eq_u32_e64 s[0:1], 3, v14
	v_lshrrev_b32_e32 v5, 2, v5
	v_and_b32_e32 v16, 7, v12
	s_or_b64 vcc, s[0:1], vcc
	v_cmp_lt_i32_e64 s[2:3], 5, v16
	v_cmp_eq_u32_e64 s[4:5], 3, v16
	v_addc_co_u32_e32 v5, vcc, 0, v5, vcc
	v_lshrrev_b32_e32 v12, 2, v12
	s_or_b64 vcc, s[4:5], s[2:3]
	v_addc_co_u32_e32 v12, vcc, 0, v12, vcc
	v_cmp_gt_i32_e32 vcc, 31, v11
	v_cndmask_b32_e32 v5, v15, v5, vcc
	v_cmp_gt_i32_e32 vcc, 31, v13
	v_lshl_or_b32 v3, v3, 9, v15
	v_cndmask_b32_e32 v12, v15, v12, vcc
	v_cmp_eq_u32_e32 vcc, s11, v11
	v_lshrrev_b32_e32 v6, 16, v6
	v_lshl_or_b32 v9, v9, 9, v15
	v_cndmask_b32_e32 v3, v5, v3, vcc
	v_cmp_eq_u32_e32 vcc, s11, v13
	v_lshrrev_b32_e32 v10, 16, v10
	v_cndmask_b32_e32 v5, v12, v9, vcc
	v_and_or_b32 v3, v6, s14, v3
	v_and_or_b32 v5, v10, s14, v5
	v_and_b32_e32 v3, 0xffff, v3
	v_lshl_or_b32 v3, v5, 16, v3
	global_store_dword v[7:8], v3, off
	global_load_dword v3, v[0:1], off offset:2672
	v_lshrrev_b32_e32 v5, 16, v4
	v_add_co_u32_e32 v7, vcc, s6, v7
	v_addc_co_u32_e32 v8, vcc, v8, v2, vcc
	s_waitcnt vmcnt(0)
	v_mul_f16_sdwa v6, v5, v3 dst_sel:DWORD dst_unused:UNUSED_PAD src0_sel:DWORD src1_sel:WORD_1
	v_fma_f16 v6, v4, v3, v6
	v_mul_f16_sdwa v4, v4, v3 dst_sel:DWORD dst_unused:UNUSED_PAD src0_sel:DWORD src1_sel:WORD_1
	v_cvt_f32_f16_e32 v6, v6
	v_fma_f16 v3, v3, v5, -v4
	v_cvt_f32_f16_e32 v5, v3
	v_cvt_f64_f32_e32 v[3:4], v6
	v_cvt_f64_f32_e32 v[5:6], v5
	v_mul_f64 v[3:4], v[3:4], s[12:13]
	v_mul_f64 v[5:6], v[5:6], s[12:13]
	v_and_or_b32 v3, v4, s15, v3
	v_cmp_ne_u32_e32 vcc, 0, v3
	v_and_or_b32 v5, v6, s15, v5
	v_lshrrev_b32_e32 v9, 8, v4
	v_bfe_u32 v10, v4, 20, 11
	v_cndmask_b32_e64 v3, 0, 1, vcc
	v_cmp_ne_u32_e32 vcc, 0, v5
	v_lshrrev_b32_e32 v11, 8, v6
	v_bfe_u32 v12, v6, 20, 11
	v_sub_u32_e32 v13, 0x3f1, v10
	v_cndmask_b32_e64 v5, 0, 1, vcc
	v_and_or_b32 v3, v9, s10, v3
	v_sub_u32_e32 v14, 0x3f1, v12
	v_med3_i32 v9, v13, 0, 13
	v_and_or_b32 v5, v11, s10, v5
	v_or_b32_e32 v13, 0x1000, v3
	v_add_u32_e32 v10, 0xfffffc10, v10
	v_med3_i32 v11, v14, 0, 13
	v_cmp_ne_u32_e32 vcc, 0, v3
	v_or_b32_e32 v16, 0x1000, v5
	v_lshrrev_b32_e32 v18, v9, v13
	v_add_u32_e32 v12, 0xfffffc10, v12
	v_lshl_or_b32 v14, v10, 12, v3
	v_cndmask_b32_e64 v3, 0, 1, vcc
	v_cmp_ne_u32_e32 vcc, 0, v5
	v_lshrrev_b32_e32 v19, v11, v16
	v_lshlrev_b32_e32 v9, v9, v18
	v_lshl_or_b32 v17, v12, 12, v5
	v_cndmask_b32_e64 v5, 0, 1, vcc
	v_lshlrev_b32_e32 v11, v11, v19
	v_cmp_ne_u32_e32 vcc, v9, v13
	v_cndmask_b32_e64 v9, 0, 1, vcc
	v_cmp_ne_u32_e32 vcc, v11, v16
	v_cndmask_b32_e64 v11, 0, 1, vcc
	v_or_b32_e32 v9, v18, v9
	v_cmp_gt_i32_e32 vcc, 1, v10
	v_cndmask_b32_e32 v9, v14, v9, vcc
	v_or_b32_e32 v11, v19, v11
	v_cmp_gt_i32_e32 vcc, 1, v12
	v_and_b32_e32 v13, 7, v9
	v_cndmask_b32_e32 v11, v17, v11, vcc
	v_cmp_lt_i32_e32 vcc, 5, v13
	v_cmp_eq_u32_e64 s[0:1], 3, v13
	v_lshrrev_b32_e32 v9, 2, v9
	v_and_b32_e32 v14, 7, v11
	s_or_b64 vcc, s[0:1], vcc
	v_cmp_lt_i32_e64 s[2:3], 5, v14
	v_cmp_eq_u32_e64 s[4:5], 3, v14
	v_addc_co_u32_e32 v9, vcc, 0, v9, vcc
	v_lshrrev_b32_e32 v11, 2, v11
	s_or_b64 vcc, s[4:5], s[2:3]
	v_addc_co_u32_e32 v11, vcc, 0, v11, vcc
	v_cmp_gt_i32_e32 vcc, 31, v10
	v_cndmask_b32_e32 v9, v15, v9, vcc
	v_cmp_gt_i32_e32 vcc, 31, v12
	v_lshl_or_b32 v3, v3, 9, v15
	v_cndmask_b32_e32 v11, v15, v11, vcc
	v_cmp_eq_u32_e32 vcc, s11, v10
	v_lshrrev_b32_e32 v4, 16, v4
	v_lshl_or_b32 v5, v5, 9, v15
	v_cndmask_b32_e32 v3, v9, v3, vcc
	v_cmp_eq_u32_e32 vcc, s11, v12
	v_lshrrev_b32_e32 v6, 16, v6
	v_cndmask_b32_e32 v5, v11, v5, vcc
	v_and_or_b32 v3, v4, s14, v3
	v_and_or_b32 v4, v6, s14, v5
	v_and_b32_e32 v3, 0xffff, v3
	v_lshl_or_b32 v3, v4, 16, v3
	global_store_dword v[7:8], v3, off
	global_load_dword v3, v[0:1], off offset:3536
	v_add_u32_e32 v0, 0x1d80, v111
	ds_read2_b32 v[0:1], v0 offset0:20 offset1:236
	s_movk_i32 s0, 0x2000
	v_add_co_u32_e32 v9, vcc, s0, v68
	v_addc_co_u32_e32 v10, vcc, 0, v69, vcc
	s_waitcnt lgkmcnt(0)
	v_lshrrev_b32_e32 v4, 16, v0
	v_add_co_u32_e32 v7, vcc, s6, v7
	v_addc_co_u32_e32 v8, vcc, v8, v2, vcc
	s_waitcnt vmcnt(0)
	v_mul_f16_sdwa v5, v4, v3 dst_sel:DWORD dst_unused:UNUSED_PAD src0_sel:DWORD src1_sel:WORD_1
	v_fma_f16 v5, v0, v3, v5
	v_mul_f16_sdwa v0, v0, v3 dst_sel:DWORD dst_unused:UNUSED_PAD src0_sel:DWORD src1_sel:WORD_1
	v_cvt_f32_f16_e32 v5, v5
	v_fma_f16 v0, v3, v4, -v0
	v_cvt_f32_f16_e32 v0, v0
	v_cvt_f64_f32_e32 v[3:4], v5
	v_cvt_f64_f32_e32 v[5:6], v0
	v_mul_f64 v[3:4], v[3:4], s[12:13]
	v_mul_f64 v[5:6], v[5:6], s[12:13]
	v_and_or_b32 v0, v4, s15, v3
	v_cmp_ne_u32_e32 vcc, 0, v0
	v_and_or_b32 v5, v6, s15, v5
	v_lshrrev_b32_e32 v3, 8, v4
	v_bfe_u32 v11, v4, 20, 11
	v_cndmask_b32_e64 v0, 0, 1, vcc
	v_cmp_ne_u32_e32 vcc, 0, v5
	v_lshrrev_b32_e32 v12, 8, v6
	v_bfe_u32 v13, v6, 20, 11
	v_sub_u32_e32 v14, 0x3f1, v11
	v_cndmask_b32_e64 v5, 0, 1, vcc
	v_and_or_b32 v0, v3, s10, v0
	v_sub_u32_e32 v16, 0x3f1, v13
	v_med3_i32 v3, v14, 0, 13
	v_and_or_b32 v5, v12, s10, v5
	v_or_b32_e32 v14, 0x1000, v0
	v_add_u32_e32 v11, 0xfffffc10, v11
	v_med3_i32 v12, v16, 0, 13
	v_cmp_ne_u32_e32 vcc, 0, v0
	v_or_b32_e32 v17, 0x1000, v5
	v_lshrrev_b32_e32 v19, v3, v14
	v_add_u32_e32 v13, 0xfffffc10, v13
	v_lshl_or_b32 v16, v11, 12, v0
	v_cndmask_b32_e64 v0, 0, 1, vcc
	v_cmp_ne_u32_e32 vcc, 0, v5
	v_lshrrev_b32_e32 v20, v12, v17
	v_lshlrev_b32_e32 v3, v3, v19
	v_lshl_or_b32 v18, v13, 12, v5
	v_cndmask_b32_e64 v5, 0, 1, vcc
	v_lshlrev_b32_e32 v12, v12, v20
	v_cmp_ne_u32_e32 vcc, v3, v14
	v_cndmask_b32_e64 v3, 0, 1, vcc
	v_cmp_ne_u32_e32 vcc, v12, v17
	v_cndmask_b32_e64 v12, 0, 1, vcc
	v_or_b32_e32 v3, v19, v3
	v_cmp_gt_i32_e32 vcc, 1, v11
	v_cndmask_b32_e32 v3, v16, v3, vcc
	v_or_b32_e32 v12, v20, v12
	v_cmp_gt_i32_e32 vcc, 1, v13
	v_and_b32_e32 v14, 7, v3
	v_cndmask_b32_e32 v12, v18, v12, vcc
	v_cmp_lt_i32_e32 vcc, 5, v14
	v_cmp_eq_u32_e64 s[0:1], 3, v14
	v_lshrrev_b32_e32 v3, 2, v3
	v_and_b32_e32 v16, 7, v12
	s_or_b64 vcc, s[0:1], vcc
	v_cmp_lt_i32_e64 s[2:3], 5, v16
	v_cmp_eq_u32_e64 s[4:5], 3, v16
	v_addc_co_u32_e32 v3, vcc, 0, v3, vcc
	v_lshrrev_b32_e32 v12, 2, v12
	s_or_b64 vcc, s[4:5], s[2:3]
	v_addc_co_u32_e32 v12, vcc, 0, v12, vcc
	v_cmp_gt_i32_e32 vcc, 31, v11
	v_cndmask_b32_e32 v3, v15, v3, vcc
	v_cmp_gt_i32_e32 vcc, 31, v13
	v_lshl_or_b32 v0, v0, 9, v15
	v_cndmask_b32_e32 v12, v15, v12, vcc
	v_cmp_eq_u32_e32 vcc, s11, v11
	v_lshrrev_b32_e32 v4, 16, v4
	v_lshl_or_b32 v5, v5, 9, v15
	v_cndmask_b32_e32 v0, v3, v0, vcc
	v_cmp_eq_u32_e32 vcc, s11, v13
	v_lshrrev_b32_e32 v6, 16, v6
	v_cndmask_b32_e32 v3, v12, v5, vcc
	v_and_or_b32 v0, v4, s14, v0
	v_and_or_b32 v3, v6, s14, v3
	v_and_b32_e32 v0, 0xffff, v0
	v_lshl_or_b32 v0, v3, 16, v0
	global_store_dword v[7:8], v0, off
	global_load_dword v0, v[9:10], off offset:304
	v_lshrrev_b32_e32 v3, 16, v1
	s_waitcnt vmcnt(0)
	v_mul_f16_sdwa v4, v3, v0 dst_sel:DWORD dst_unused:UNUSED_PAD src0_sel:DWORD src1_sel:WORD_1
	v_fma_f16 v4, v1, v0, v4
	v_mul_f16_sdwa v1, v1, v0 dst_sel:DWORD dst_unused:UNUSED_PAD src0_sel:DWORD src1_sel:WORD_1
	v_cvt_f32_f16_e32 v4, v4
	v_fma_f16 v0, v0, v3, -v1
	v_cvt_f32_f16_e32 v3, v0
	v_cvt_f64_f32_e32 v[0:1], v4
	v_cvt_f64_f32_e32 v[3:4], v3
	v_mul_f64 v[0:1], v[0:1], s[12:13]
	v_mul_f64 v[3:4], v[3:4], s[12:13]
	v_and_or_b32 v0, v1, s15, v0
	v_cmp_ne_u32_e32 vcc, 0, v0
	v_and_or_b32 v3, v4, s15, v3
	v_lshrrev_b32_e32 v5, 8, v1
	v_bfe_u32 v6, v1, 20, 11
	v_cndmask_b32_e64 v0, 0, 1, vcc
	v_cmp_ne_u32_e32 vcc, 0, v3
	v_lshrrev_b32_e32 v9, 8, v4
	v_bfe_u32 v10, v4, 20, 11
	v_sub_u32_e32 v11, 0x3f1, v6
	v_cndmask_b32_e64 v3, 0, 1, vcc
	v_and_or_b32 v0, v5, s10, v0
	v_sub_u32_e32 v12, 0x3f1, v10
	v_med3_i32 v5, v11, 0, 13
	v_and_or_b32 v3, v9, s10, v3
	v_or_b32_e32 v11, 0x1000, v0
	v_add_u32_e32 v6, 0xfffffc10, v6
	v_med3_i32 v9, v12, 0, 13
	v_cmp_ne_u32_e32 vcc, 0, v0
	v_or_b32_e32 v13, 0x1000, v3
	v_lshrrev_b32_e32 v16, v5, v11
	v_add_u32_e32 v10, 0xfffffc10, v10
	v_lshl_or_b32 v12, v6, 12, v0
	v_cndmask_b32_e64 v0, 0, 1, vcc
	v_cmp_ne_u32_e32 vcc, 0, v3
	v_lshrrev_b32_e32 v17, v9, v13
	v_lshlrev_b32_e32 v5, v5, v16
	v_lshl_or_b32 v14, v10, 12, v3
	v_cndmask_b32_e64 v3, 0, 1, vcc
	v_lshlrev_b32_e32 v9, v9, v17
	v_cmp_ne_u32_e32 vcc, v5, v11
	v_cndmask_b32_e64 v5, 0, 1, vcc
	v_cmp_ne_u32_e32 vcc, v9, v13
	v_cndmask_b32_e64 v9, 0, 1, vcc
	v_or_b32_e32 v5, v16, v5
	v_cmp_gt_i32_e32 vcc, 1, v6
	v_cndmask_b32_e32 v5, v12, v5, vcc
	v_or_b32_e32 v9, v17, v9
	v_cmp_gt_i32_e32 vcc, 1, v10
	v_and_b32_e32 v11, 7, v5
	v_cndmask_b32_e32 v9, v14, v9, vcc
	v_cmp_lt_i32_e32 vcc, 5, v11
	v_cmp_eq_u32_e64 s[0:1], 3, v11
	v_lshrrev_b32_e32 v5, 2, v5
	v_and_b32_e32 v12, 7, v9
	s_or_b64 vcc, s[0:1], vcc
	v_cmp_lt_i32_e64 s[2:3], 5, v12
	v_cmp_eq_u32_e64 s[4:5], 3, v12
	v_addc_co_u32_e32 v5, vcc, 0, v5, vcc
	v_lshrrev_b32_e32 v9, 2, v9
	s_or_b64 vcc, s[4:5], s[2:3]
	v_addc_co_u32_e32 v9, vcc, 0, v9, vcc
	v_cmp_gt_i32_e32 vcc, 31, v6
	v_cndmask_b32_e32 v5, v15, v5, vcc
	v_cmp_gt_i32_e32 vcc, 31, v10
	v_lshl_or_b32 v0, v0, 9, v15
	v_cndmask_b32_e32 v9, v15, v9, vcc
	v_cmp_eq_u32_e32 vcc, s11, v6
	v_lshrrev_b32_e32 v1, 16, v1
	v_lshl_or_b32 v3, v3, 9, v15
	v_cndmask_b32_e32 v0, v5, v0, vcc
	v_cmp_eq_u32_e32 vcc, s11, v10
	v_lshrrev_b32_e32 v4, 16, v4
	v_cndmask_b32_e32 v3, v9, v3, vcc
	v_and_or_b32 v0, v1, s14, v0
	v_and_or_b32 v1, v4, s14, v3
	v_and_b32_e32 v0, 0xffff, v0
	v_lshl_or_b32 v3, v1, 16, v0
	v_add_co_u32_e32 v0, vcc, s6, v7
	v_addc_co_u32_e32 v1, vcc, v8, v2, vcc
	global_store_dword v[0:1], v3, off
.LBB0_15:
	s_endpgm
	.section	.rodata,"a",@progbits
	.p2align	6, 0x0
	.amdhsa_kernel bluestein_single_back_len2160_dim1_half_op_CI_CI
		.amdhsa_group_segment_fixed_size 8640
		.amdhsa_private_segment_fixed_size 0
		.amdhsa_kernarg_size 104
		.amdhsa_user_sgpr_count 6
		.amdhsa_user_sgpr_private_segment_buffer 1
		.amdhsa_user_sgpr_dispatch_ptr 0
		.amdhsa_user_sgpr_queue_ptr 0
		.amdhsa_user_sgpr_kernarg_segment_ptr 1
		.amdhsa_user_sgpr_dispatch_id 0
		.amdhsa_user_sgpr_flat_scratch_init 0
		.amdhsa_user_sgpr_private_segment_size 0
		.amdhsa_uses_dynamic_stack 0
		.amdhsa_system_sgpr_private_segment_wavefront_offset 0
		.amdhsa_system_sgpr_workgroup_id_x 1
		.amdhsa_system_sgpr_workgroup_id_y 0
		.amdhsa_system_sgpr_workgroup_id_z 0
		.amdhsa_system_sgpr_workgroup_info 0
		.amdhsa_system_vgpr_workitem_id 0
		.amdhsa_next_free_vgpr 237
		.amdhsa_next_free_sgpr 20
		.amdhsa_reserve_vcc 1
		.amdhsa_reserve_flat_scratch 0
		.amdhsa_float_round_mode_32 0
		.amdhsa_float_round_mode_16_64 0
		.amdhsa_float_denorm_mode_32 3
		.amdhsa_float_denorm_mode_16_64 3
		.amdhsa_dx10_clamp 1
		.amdhsa_ieee_mode 1
		.amdhsa_fp16_overflow 0
		.amdhsa_exception_fp_ieee_invalid_op 0
		.amdhsa_exception_fp_denorm_src 0
		.amdhsa_exception_fp_ieee_div_zero 0
		.amdhsa_exception_fp_ieee_overflow 0
		.amdhsa_exception_fp_ieee_underflow 0
		.amdhsa_exception_fp_ieee_inexact 0
		.amdhsa_exception_int_div_zero 0
	.end_amdhsa_kernel
	.text
.Lfunc_end0:
	.size	bluestein_single_back_len2160_dim1_half_op_CI_CI, .Lfunc_end0-bluestein_single_back_len2160_dim1_half_op_CI_CI
                                        ; -- End function
	.section	.AMDGPU.csdata,"",@progbits
; Kernel info:
; codeLenInByte = 56516
; NumSgprs: 24
; NumVgprs: 237
; ScratchSize: 0
; MemoryBound: 0
; FloatMode: 240
; IeeeMode: 1
; LDSByteSize: 8640 bytes/workgroup (compile time only)
; SGPRBlocks: 2
; VGPRBlocks: 59
; NumSGPRsForWavesPerEU: 24
; NumVGPRsForWavesPerEU: 237
; Occupancy: 1
; WaveLimiterHint : 1
; COMPUTE_PGM_RSRC2:SCRATCH_EN: 0
; COMPUTE_PGM_RSRC2:USER_SGPR: 6
; COMPUTE_PGM_RSRC2:TRAP_HANDLER: 0
; COMPUTE_PGM_RSRC2:TGID_X_EN: 1
; COMPUTE_PGM_RSRC2:TGID_Y_EN: 0
; COMPUTE_PGM_RSRC2:TGID_Z_EN: 0
; COMPUTE_PGM_RSRC2:TIDIG_COMP_CNT: 0
	.type	__hip_cuid_6ee0b394d9696d77,@object ; @__hip_cuid_6ee0b394d9696d77
	.section	.bss,"aw",@nobits
	.globl	__hip_cuid_6ee0b394d9696d77
__hip_cuid_6ee0b394d9696d77:
	.byte	0                               ; 0x0
	.size	__hip_cuid_6ee0b394d9696d77, 1

	.ident	"AMD clang version 19.0.0git (https://github.com/RadeonOpenCompute/llvm-project roc-6.4.0 25133 c7fe45cf4b819c5991fe208aaa96edf142730f1d)"
	.section	".note.GNU-stack","",@progbits
	.addrsig
	.addrsig_sym __hip_cuid_6ee0b394d9696d77
	.amdgpu_metadata
---
amdhsa.kernels:
  - .args:
      - .actual_access:  read_only
        .address_space:  global
        .offset:         0
        .size:           8
        .value_kind:     global_buffer
      - .actual_access:  read_only
        .address_space:  global
        .offset:         8
        .size:           8
        .value_kind:     global_buffer
      - .actual_access:  read_only
        .address_space:  global
        .offset:         16
        .size:           8
        .value_kind:     global_buffer
      - .actual_access:  read_only
        .address_space:  global
        .offset:         24
        .size:           8
        .value_kind:     global_buffer
      - .actual_access:  read_only
        .address_space:  global
        .offset:         32
        .size:           8
        .value_kind:     global_buffer
      - .offset:         40
        .size:           8
        .value_kind:     by_value
      - .address_space:  global
        .offset:         48
        .size:           8
        .value_kind:     global_buffer
      - .address_space:  global
        .offset:         56
        .size:           8
        .value_kind:     global_buffer
      - .address_space:  global
        .offset:         64
        .size:           8
        .value_kind:     global_buffer
      - .address_space:  global
        .offset:         72
        .size:           8
        .value_kind:     global_buffer
      - .offset:         80
        .size:           4
        .value_kind:     by_value
      - .address_space:  global
        .offset:         88
        .size:           8
        .value_kind:     global_buffer
      - .address_space:  global
        .offset:         96
        .size:           8
        .value_kind:     global_buffer
    .group_segment_fixed_size: 8640
    .kernarg_segment_align: 8
    .kernarg_segment_size: 104
    .language:       OpenCL C
    .language_version:
      - 2
      - 0
    .max_flat_workgroup_size: 60
    .name:           bluestein_single_back_len2160_dim1_half_op_CI_CI
    .private_segment_fixed_size: 0
    .sgpr_count:     24
    .sgpr_spill_count: 0
    .symbol:         bluestein_single_back_len2160_dim1_half_op_CI_CI.kd
    .uniform_work_group_size: 1
    .uses_dynamic_stack: false
    .vgpr_count:     237
    .vgpr_spill_count: 0
    .wavefront_size: 64
amdhsa.target:   amdgcn-amd-amdhsa--gfx906
amdhsa.version:
  - 1
  - 2
...

	.end_amdgpu_metadata
